;; amdgpu-corpus repo=ROCm/rocFFT kind=compiled arch=gfx1100 opt=O3
	.text
	.amdgcn_target "amdgcn-amd-amdhsa--gfx1100"
	.amdhsa_code_object_version 6
	.protected	bluestein_single_fwd_len4050_dim1_dp_op_CI_CI ; -- Begin function bluestein_single_fwd_len4050_dim1_dp_op_CI_CI
	.globl	bluestein_single_fwd_len4050_dim1_dp_op_CI_CI
	.p2align	8
	.type	bluestein_single_fwd_len4050_dim1_dp_op_CI_CI,@function
bluestein_single_fwd_len4050_dim1_dp_op_CI_CI: ; @bluestein_single_fwd_len4050_dim1_dp_op_CI_CI
; %bb.0:
	s_load_b128 s[16:19], s[0:1], 0x28
	v_mul_u32_u24_e32 v1, 0x1e6, v0
	s_mov_b32 s2, exec_lo
	v_mov_b32_e32 v3, 0
	s_delay_alu instid0(VALU_DEP_2) | instskip(NEXT) | instid1(VALU_DEP_1)
	v_lshrrev_b32_e32 v1, 16, v1
	v_add_nc_u32_e32 v2, s15, v1
	s_waitcnt lgkmcnt(0)
	s_delay_alu instid0(VALU_DEP_1)
	v_cmpx_gt_u64_e64 s[16:17], v[2:3]
	s_cbranch_execz .LBB0_2
; %bb.1:
	s_clause 0x1
	s_load_b128 s[4:7], s[0:1], 0x18
	s_load_b128 s[8:11], s[0:1], 0x0
	v_mul_lo_u16 v1, 0x87, v1
	s_mov_b32 s21, 0xbfee6f0e
	s_mov_b32 s17, 0xbfe2cf23
	;; [unrolled: 1-line block ×4, first 2 shown]
	v_sub_nc_u16 v119, v0, v1
	s_mov_b32 s25, 0xbfd3c6ef
	s_mov_b32 s27, 0xbfe9e377
	v_mov_b32_e32 v6, v2
	s_mov_b32 s26, s22
	v_and_b32_e32 v7, 0xffff, v119
	s_load_b64 s[0:1], s[0:1], 0x38
	scratch_store_b64 off, v[6:7], off      ; 8-byte Folded Spill
	v_lshlrev_b32_e32 v94, 4, v7
	s_waitcnt lgkmcnt(0)
	s_load_b128 s[12:15], s[4:5], 0x0
	s_delay_alu instid0(VALU_DEP_1) | instskip(NEXT) | instid1(VALU_DEP_1)
	v_add_co_u32 v95, s2, s8, v94
	v_add_co_ci_u32_e64 v118, null, s9, 0, s2
	s_delay_alu instid0(VALU_DEP_2)
	v_add_co_u32 v48, s2, 0x3000, v95
	v_add_co_u32 v88, s3, 0x4000, v95
	s_waitcnt lgkmcnt(0)
	v_mad_u64_u32 v[0:1], null, s14, v2, 0
	v_mad_u64_u32 v[2:3], null, s12, v7, 0
	s_mul_i32 s4, s13, 0x1950
	s_mul_hi_u32 s14, s12, 0x1950
	s_mul_i32 s5, s12, 0x1950
	s_add_i32 s4, s14, s4
	s_delay_alu instid0(VALU_DEP_1) | instskip(SKIP_3) | instid1(VALU_DEP_1)
	v_mad_u64_u32 v[4:5], null, s15, v6, v[1:2]
	s_mov_b32 s14, 0x4755a5e
	s_mov_b32 s15, 0x3fe2cf23
	;; [unrolled: 1-line block ×3, first 2 shown]
	v_mad_u64_u32 v[5:6], null, s13, v7, v[3:4]
	v_mov_b32_e32 v1, v4
	s_delay_alu instid0(VALU_DEP_1) | instskip(NEXT) | instid1(VALU_DEP_3)
	v_lshlrev_b64 v[0:1], 4, v[0:1]
	v_mov_b32_e32 v3, v5
	s_delay_alu instid0(VALU_DEP_2) | instskip(NEXT) | instid1(VALU_DEP_2)
	v_add_co_u32 v0, vcc_lo, s18, v0
	v_lshlrev_b64 v[2:3], 4, v[2:3]
	s_delay_alu instid0(VALU_DEP_4) | instskip(SKIP_3) | instid1(VALU_DEP_2)
	v_add_co_ci_u32_e32 v1, vcc_lo, s19, v1, vcc_lo
	s_mov_b32 s18, 0x134454ff
	s_mov_b32 s19, 0x3fee6f0e
	;; [unrolled: 1-line block ×3, first 2 shown]
	v_add_co_u32 v4, vcc_lo, v0, v2
	v_add_co_ci_u32_e32 v5, vcc_lo, v1, v3, vcc_lo
	global_load_b128 v[30:33], v94, s[8:9]
	global_load_b128 v[0:3], v[4:5], off
	v_add_co_u32 v80, vcc_lo, 0x1000, v95
	v_add_co_ci_u32_e32 v81, vcc_lo, 0, v118, vcc_lo
	v_add_co_u32 v8, vcc_lo, v4, s5
	v_add_co_ci_u32_e32 v9, vcc_lo, s4, v5, vcc_lo
	v_add_co_ci_u32_e64 v49, vcc_lo, 0, v118, s2
	v_add_co_ci_u32_e64 v89, vcc_lo, 0, v118, s3
	global_load_b128 v[42:45], v[80:81], off offset:2384
	global_load_b128 v[4:7], v[8:9], off
	v_add_co_u32 v8, vcc_lo, v8, s5
	v_add_co_ci_u32_e32 v9, vcc_lo, s4, v9, vcc_lo
	global_load_b128 v[38:41], v[48:49], off offset:672
	v_add_co_u32 v16, vcc_lo, v8, s5
	v_add_co_ci_u32_e32 v17, vcc_lo, s4, v9, vcc_lo
	global_load_b128 v[8:11], v[8:9], off
	global_load_b128 v[34:37], v[88:89], off offset:3056
	global_load_b128 v[12:15], v[16:17], off
	v_add_co_u32 v56, vcc_lo, 0x6000, v95
	v_add_co_ci_u32_e32 v57, vcc_lo, 0, v118, vcc_lo
	s_mul_i32 s2, s13, 0xffff24a0
	s_mov_b32 s3, 0xbfebb67a
	s_sub_i32 s2, s2, s12
	global_load_b128 v[70:73], v[56:57], off offset:3504
	s_waitcnt vmcnt(8)
	scratch_store_b128 off, v[30:33], off offset:24 ; 16-byte Folded Spill
	s_waitcnt vmcnt(7)
	v_mul_f64 v[18:19], v[2:3], v[32:33]
	v_mul_f64 v[20:21], v[0:1], v[32:33]
	s_waitcnt vmcnt(6)
	scratch_store_b128 off, v[42:45], off offset:8 ; 16-byte Folded Spill
	s_waitcnt vmcnt(5)
	v_mul_f64 v[22:23], v[6:7], v[44:45]
	v_mul_f64 v[24:25], v[4:5], v[44:45]
	s_waitcnt vmcnt(4)
	scratch_store_b128 off, v[38:41], off offset:184 ; 16-byte Folded Spill
	s_waitcnt vmcnt(3)
	v_mul_f64 v[26:27], v[10:11], v[40:41]
	s_waitcnt vmcnt(2)
	scratch_store_b128 off, v[34:37], off offset:216 ; 16-byte Folded Spill
	v_mul_f64 v[28:29], v[8:9], v[40:41]
	s_waitcnt vmcnt(0)
	scratch_store_b128 off, v[70:73], off offset:104 ; 16-byte Folded Spill
	v_fma_f64 v[0:1], v[0:1], v[30:31], v[18:19]
	v_mul_f64 v[18:19], v[14:15], v[36:37]
	v_fma_f64 v[2:3], v[2:3], v[30:31], -v[20:21]
	v_mul_f64 v[20:21], v[12:13], v[36:37]
	v_fma_f64 v[4:5], v[4:5], v[42:43], v[22:23]
	v_add_co_u32 v22, vcc_lo, v16, s5
	v_fma_f64 v[6:7], v[6:7], v[42:43], -v[24:25]
	v_add_co_ci_u32_e32 v23, vcc_lo, s4, v17, vcc_lo
	v_add_co_u32 v96, vcc_lo, 0x7000, v95
	v_add_co_ci_u32_e32 v97, vcc_lo, 0, v118, vcc_lo
	v_fma_f64 v[8:9], v[8:9], v[38:39], v[26:27]
	global_load_b128 v[24:27], v[56:57], off offset:1344
	v_fma_f64 v[10:11], v[10:11], v[38:39], -v[28:29]
	global_load_b128 v[30:33], v[96:97], off offset:3728
	v_fma_f64 v[12:13], v[12:13], v[34:35], v[18:19]
	global_load_b128 v[16:19], v[22:23], off
	v_fma_f64 v[14:15], v[14:15], v[34:35], -v[20:21]
	s_waitcnt vmcnt(2)
	v_mov_b32_e32 v29, v27
	v_dual_mov_b32 v28, v26 :: v_dual_mov_b32 v27, v25
	v_mov_b32_e32 v26, v24
	s_waitcnt vmcnt(1)
	s_clause 0x1
	scratch_store_b128 off, v[30:33], off offset:264
	scratch_store_b128 off, v[26:29], off offset:232
	s_waitcnt vmcnt(0)
	v_mul_f64 v[24:25], v[16:17], v[28:29]
	v_mul_f64 v[20:21], v[18:19], v[28:29]
	s_delay_alu instid0(VALU_DEP_2) | instskip(SKIP_2) | instid1(VALU_DEP_4)
	v_fma_f64 v[18:19], v[18:19], v[26:27], -v[24:25]
	v_add_co_u32 v24, vcc_lo, v22, s5
	v_add_co_ci_u32_e32 v25, vcc_lo, s4, v23, vcc_lo
	v_fma_f64 v[16:17], v[16:17], v[26:27], v[20:21]
	global_load_b128 v[20:23], v[24:25], off
	s_waitcnt vmcnt(0)
	v_mul_f64 v[28:29], v[20:21], v[32:33]
	v_mul_f64 v[26:27], v[22:23], v[32:33]
	s_delay_alu instid0(VALU_DEP_2)
	v_fma_f64 v[22:23], v[22:23], v[30:31], -v[28:29]
	v_add_co_u32 v28, vcc_lo, v24, s5
	v_add_co_ci_u32_e32 v29, vcc_lo, s4, v25, vcc_lo
	v_add_co_u32 v24, vcc_lo, 0x9000, v95
	v_add_co_ci_u32_e32 v25, vcc_lo, 0, v118, vcc_lo
	v_fma_f64 v[20:21], v[20:21], v[30:31], v[26:27]
	global_load_b128 v[34:37], v[24:25], off offset:2016
	global_load_b128 v[24:27], v[28:29], off
	s_waitcnt vmcnt(0)
	v_mul_f64 v[32:33], v[24:25], v[36:37]
	v_mul_f64 v[30:31], v[26:27], v[36:37]
	s_delay_alu instid0(VALU_DEP_2)
	v_fma_f64 v[26:27], v[26:27], v[34:35], -v[32:33]
	v_add_co_u32 v32, vcc_lo, v28, s5
	v_add_co_ci_u32_e32 v33, vcc_lo, s4, v29, vcc_lo
	v_add_co_u32 v68, vcc_lo, 0xb000, v95
	v_add_co_ci_u32_e32 v69, vcc_lo, 0, v118, vcc_lo
	v_fma_f64 v[24:25], v[24:25], v[34:35], v[30:31]
	global_load_b128 v[28:31], v[32:33], off
	global_load_b128 v[38:41], v[68:69], off offset:304
	scratch_store_b128 off, v[34:37], off offset:376 ; 16-byte Folded Spill
	s_waitcnt vmcnt(0)
	scratch_store_b128 off, v[38:41], off offset:424 ; 16-byte Folded Spill
	v_mul_f64 v[36:37], v[28:29], v[40:41]
	v_mul_f64 v[34:35], v[30:31], v[40:41]
	s_delay_alu instid0(VALU_DEP_2)
	v_fma_f64 v[30:31], v[30:31], v[38:39], -v[36:37]
	v_add_co_u32 v36, vcc_lo, v32, s5
	v_add_co_ci_u32_e32 v37, vcc_lo, s4, v33, vcc_lo
	v_add_co_u32 v108, vcc_lo, 0xc000, v95
	v_add_co_ci_u32_e32 v109, vcc_lo, 0, v118, vcc_lo
	v_fma_f64 v[28:29], v[28:29], v[38:39], v[34:35]
	global_load_b128 v[32:35], v[36:37], off
	global_load_b128 v[42:45], v[108:109], off offset:2688
	s_waitcnt vmcnt(0)
	v_mul_f64 v[40:41], v[32:33], v[44:45]
	v_mul_f64 v[38:39], v[34:35], v[44:45]
	scratch_store_b128 off, v[42:45], off offset:440 ; 16-byte Folded Spill
	v_fma_f64 v[34:35], v[34:35], v[42:43], -v[40:41]
	v_add_co_u32 v40, vcc_lo, v36, s5
	v_add_co_ci_u32_e32 v41, vcc_lo, s4, v37, vcc_lo
	v_add_co_u32 v76, vcc_lo, 0xe000, v95
	v_add_co_ci_u32_e32 v77, vcc_lo, 0, v118, vcc_lo
	v_fma_f64 v[32:33], v[32:33], v[42:43], v[38:39]
	global_load_b128 v[36:39], v[40:41], off
	global_load_b128 v[50:53], v[76:77], off offset:976
	s_waitcnt vmcnt(0)
	v_mul_f64 v[44:45], v[36:37], v[52:53]
	v_mul_f64 v[42:43], v[38:39], v[52:53]
	scratch_store_b128 off, v[50:53], off offset:456 ; 16-byte Folded Spill
	global_load_b128 v[52:55], v94, s[8:9] offset:2160
	s_mov_b32 s8, 0xe8584caa
	s_mov_b32 s9, 0x3febb67a
	v_fma_f64 v[38:39], v[38:39], v[50:51], -v[44:45]
	v_mad_u64_u32 v[44:45], null, 0xffff24a0, s12, v[40:41]
	v_fma_f64 v[36:37], v[36:37], v[50:51], v[42:43]
	s_delay_alu instid0(VALU_DEP_2) | instskip(SKIP_4) | instid1(VALU_DEP_2)
	v_add_nc_u32_e32 v45, s2, v45
	global_load_b128 v[40:43], v[44:45], off
	s_waitcnt vmcnt(0)
	v_mul_f64 v[50:51], v[40:41], v[54:55]
	v_mul_f64 v[46:47], v[42:43], v[54:55]
	v_fma_f64 v[42:43], v[42:43], v[52:53], -v[50:51]
	v_add_co_u32 v50, vcc_lo, v44, s5
	v_add_co_ci_u32_e32 v51, vcc_lo, s4, v45, vcc_lo
	v_add_co_u32 v84, vcc_lo, 0x2000, v95
	v_add_co_ci_u32_e32 v85, vcc_lo, 0, v118, vcc_lo
	v_fma_f64 v[40:41], v[40:41], v[52:53], v[46:47]
	global_load_b128 v[44:47], v[50:51], off
	global_load_b128 v[58:61], v[84:85], off offset:448
	scratch_store_b128 off, v[52:55], off offset:40 ; 16-byte Folded Spill
	s_waitcnt vmcnt(0)
	scratch_store_b128 off, v[58:61], off offset:56 ; 16-byte Folded Spill
	v_mul_f64 v[52:53], v[46:47], v[60:61]
	v_mul_f64 v[54:55], v[44:45], v[60:61]
	global_load_b128 v[60:63], v[48:49], off offset:2832
	v_fma_f64 v[44:45], v[44:45], v[58:59], v[52:53]
	v_add_co_u32 v52, vcc_lo, v50, s5
	v_add_co_ci_u32_e32 v53, vcc_lo, s4, v51, vcc_lo
	v_fma_f64 v[46:47], v[46:47], v[58:59], -v[54:55]
	global_load_b128 v[48:51], v[52:53], off
	s_waitcnt vmcnt(0)
	v_mul_f64 v[58:59], v[48:49], v[62:63]
	v_mul_f64 v[54:55], v[50:51], v[62:63]
	s_delay_alu instid0(VALU_DEP_2)
	v_fma_f64 v[50:51], v[50:51], v[60:61], -v[58:59]
	v_add_co_u32 v58, vcc_lo, v52, s5
	v_add_co_ci_u32_e32 v59, vcc_lo, s4, v53, vcc_lo
	v_add_co_u32 v92, vcc_lo, 0x5000, v95
	v_add_co_ci_u32_e32 v93, vcc_lo, 0, v118, vcc_lo
	v_fma_f64 v[48:49], v[48:49], v[60:61], v[54:55]
	global_load_b128 v[52:55], v[58:59], off
	global_load_b128 v[64:67], v[92:93], off offset:1120
	scratch_store_b128 off, v[60:63], off offset:72 ; 16-byte Folded Spill
	global_load_b128 v[120:123], v[92:93], off offset:3280
	s_waitcnt vmcnt(1)
	scratch_store_b128 off, v[64:67], off offset:88 ; 16-byte Folded Spill
	v_mul_f64 v[60:61], v[54:55], v[66:67]
	v_mul_f64 v[62:63], v[52:53], v[66:67]
	s_waitcnt vmcnt(0)
	scratch_store_b128 off, v[120:123], off offset:360 ; 16-byte Folded Spill
	v_fma_f64 v[52:53], v[52:53], v[64:65], v[60:61]
	v_add_co_u32 v60, vcc_lo, v58, s5
	v_add_co_ci_u32_e32 v61, vcc_lo, s4, v59, vcc_lo
	v_fma_f64 v[54:55], v[54:55], v[64:65], -v[62:63]
	global_load_b128 v[56:59], v[60:61], off
	s_waitcnt vmcnt(0)
	v_mul_f64 v[64:65], v[56:57], v[72:73]
	v_mul_f64 v[62:63], v[58:59], v[72:73]
	s_delay_alu instid0(VALU_DEP_2)
	v_fma_f64 v[58:59], v[58:59], v[70:71], -v[64:65]
	v_add_co_u32 v64, vcc_lo, v60, s5
	v_add_co_ci_u32_e32 v65, vcc_lo, s4, v61, vcc_lo
	v_add_co_u32 v100, vcc_lo, 0x8000, v95
	v_add_co_ci_u32_e32 v101, vcc_lo, 0, v118, vcc_lo
	v_fma_f64 v[56:57], v[56:57], v[70:71], v[62:63]
	global_load_b128 v[60:63], v[64:65], off
	global_load_b128 v[72:75], v[100:101], off offset:1792
	s_waitcnt vmcnt(0)
	v_mul_f64 v[70:71], v[60:61], v[74:75]
	v_mul_f64 v[66:67], v[62:63], v[74:75]
	s_delay_alu instid0(VALU_DEP_2)
	v_fma_f64 v[62:63], v[62:63], v[72:73], -v[70:71]
	v_add_co_u32 v70, vcc_lo, v64, s5
	v_add_co_ci_u32_e32 v71, vcc_lo, s4, v65, vcc_lo
	v_add_co_u32 v104, vcc_lo, 0xa000, v95
	v_add_co_ci_u32_e32 v105, vcc_lo, 0, v118, vcc_lo
	v_fma_f64 v[60:61], v[60:61], v[72:73], v[66:67]
	global_load_b128 v[64:67], v[70:71], off
	global_load_b128 v[110:113], v[104:105], off offset:80
	scratch_store_b128 off, v[72:75], off offset:120 ; 16-byte Folded Spill
	s_waitcnt vmcnt(0)
	scratch_store_b128 off, v[110:113], off offset:136 ; 16-byte Folded Spill
	v_mul_f64 v[72:73], v[66:67], v[112:113]
	v_mul_f64 v[74:75], v[64:65], v[112:113]
	s_delay_alu instid0(VALU_DEP_2) | instskip(SKIP_2) | instid1(VALU_DEP_4)
	v_fma_f64 v[64:65], v[64:65], v[110:111], v[72:73]
	v_add_co_u32 v72, vcc_lo, v70, s5
	v_add_co_ci_u32_e32 v73, vcc_lo, s4, v71, vcc_lo
	v_fma_f64 v[66:67], v[66:67], v[110:111], -v[74:75]
	global_load_b128 v[110:113], v[68:69], off offset:2464
	global_load_b128 v[68:71], v[72:73], off
	s_waitcnt vmcnt(1)
	scratch_store_b128 off, v[110:113], off offset:168 ; 16-byte Folded Spill
	s_waitcnt vmcnt(0)
	v_mul_f64 v[78:79], v[68:69], v[112:113]
	v_mul_f64 v[74:75], v[70:71], v[112:113]
	s_delay_alu instid0(VALU_DEP_2) | instskip(SKIP_2) | instid1(VALU_DEP_4)
	v_fma_f64 v[70:71], v[70:71], v[110:111], -v[78:79]
	v_add_co_u32 v78, vcc_lo, v72, s5
	v_add_co_ci_u32_e32 v79, vcc_lo, s4, v73, vcc_lo
	v_fma_f64 v[68:69], v[68:69], v[110:111], v[74:75]
	v_add_co_u32 v110, vcc_lo, 0xd000, v95
	v_add_co_ci_u32_e32 v111, vcc_lo, 0, v118, vcc_lo
	global_load_b128 v[72:75], v[78:79], off
	global_load_b128 v[112:115], v[110:111], off offset:752
	s_waitcnt vmcnt(0)
	v_mul_f64 v[82:83], v[74:75], v[114:115]
	v_mul_f64 v[86:87], v[72:73], v[114:115]
	scratch_store_b128 off, v[112:115], off offset:200 ; 16-byte Folded Spill
	v_fma_f64 v[72:73], v[72:73], v[112:113], v[82:83]
	v_add_co_u32 v82, vcc_lo, v78, s5
	v_add_co_ci_u32_e32 v83, vcc_lo, s4, v79, vcc_lo
	v_fma_f64 v[74:75], v[74:75], v[112:113], -v[86:87]
	global_load_b128 v[112:115], v[76:77], off offset:3136
	global_load_b128 v[76:79], v[82:83], off
	s_waitcnt vmcnt(1)
	scratch_store_b128 off, v[112:115], off offset:248 ; 16-byte Folded Spill
	s_waitcnt vmcnt(0)
	v_mul_f64 v[86:87], v[78:79], v[114:115]
	v_mul_f64 v[90:91], v[76:77], v[114:115]
	s_delay_alu instid0(VALU_DEP_2) | instskip(SKIP_1) | instid1(VALU_DEP_3)
	v_fma_f64 v[76:77], v[76:77], v[112:113], v[86:87]
	v_mad_u64_u32 v[86:87], null, 0xffff24a0, s12, v[82:83]
	v_fma_f64 v[78:79], v[78:79], v[112:113], -v[90:91]
	global_load_b128 v[112:115], v[80:81], off offset:224
	s_mov_b32 s12, 0x372fe950
	s_mov_b32 s13, 0x3fd3c6ef
	;; [unrolled: 1-line block ×3, first 2 shown]
	v_add_nc_u32_e32 v87, s2, v87
	global_load_b128 v[80:83], v[86:87], off
	s_waitcnt vmcnt(1)
	scratch_store_b128 off, v[112:115], off offset:296 ; 16-byte Folded Spill
	s_waitcnt vmcnt(0)
	v_mul_f64 v[90:91], v[82:83], v[114:115]
	v_mul_f64 v[98:99], v[80:81], v[114:115]
	s_delay_alu instid0(VALU_DEP_2) | instskip(SKIP_2) | instid1(VALU_DEP_4)
	v_fma_f64 v[80:81], v[80:81], v[112:113], v[90:91]
	v_add_co_u32 v90, vcc_lo, v86, s5
	v_add_co_ci_u32_e32 v91, vcc_lo, s4, v87, vcc_lo
	v_fma_f64 v[82:83], v[82:83], v[112:113], -v[98:99]
	global_load_b128 v[112:115], v[84:85], off offset:2608
	global_load_b128 v[84:87], v[90:91], off
	s_waitcnt vmcnt(1)
	scratch_store_b128 off, v[112:115], off offset:328 ; 16-byte Folded Spill
	s_waitcnt vmcnt(0)
	v_mul_f64 v[98:99], v[86:87], v[114:115]
	v_mul_f64 v[102:103], v[84:85], v[114:115]
	s_delay_alu instid0(VALU_DEP_2) | instskip(SKIP_2) | instid1(VALU_DEP_4)
	v_fma_f64 v[84:85], v[84:85], v[112:113], v[98:99]
	v_add_co_u32 v98, vcc_lo, v90, s5
	v_add_co_ci_u32_e32 v99, vcc_lo, s4, v91, vcc_lo
	v_fma_f64 v[86:87], v[86:87], v[112:113], -v[102:103]
	global_load_b128 v[112:115], v[88:89], off offset:896
	global_load_b128 v[88:91], v[98:99], off
	v_add_co_u32 v98, vcc_lo, v98, s5
	v_add_co_ci_u32_e32 v99, vcc_lo, s4, v99, vcc_lo
	s_waitcnt vmcnt(1)
	scratch_store_b128 off, v[112:115], off offset:344 ; 16-byte Folded Spill
	s_waitcnt vmcnt(0)
	v_mul_f64 v[102:103], v[90:91], v[114:115]
	v_mul_f64 v[106:107], v[88:89], v[114:115]
	s_delay_alu instid0(VALU_DEP_2) | instskip(NEXT) | instid1(VALU_DEP_2)
	v_fma_f64 v[88:89], v[88:89], v[112:113], v[102:103]
	v_fma_f64 v[90:91], v[90:91], v[112:113], -v[106:107]
	global_load_b128 v[112:115], v[98:99], off
	s_waitcnt vmcnt(0)
	v_mul_f64 v[92:93], v[114:115], v[122:123]
	v_mul_f64 v[102:103], v[112:113], v[122:123]
	s_delay_alu instid0(VALU_DEP_2) | instskip(SKIP_2) | instid1(VALU_DEP_4)
	v_fma_f64 v[112:113], v[112:113], v[120:121], v[92:93]
	v_add_co_u32 v92, vcc_lo, v98, s5
	v_add_co_ci_u32_e32 v93, vcc_lo, s4, v99, vcc_lo
	v_fma_f64 v[114:115], v[114:115], v[120:121], -v[102:103]
	global_load_b128 v[120:123], v[96:97], off offset:1568
	global_load_b128 v[96:99], v[92:93], off
	v_add_co_u32 v92, vcc_lo, v92, s5
	v_add_co_ci_u32_e32 v93, vcc_lo, s4, v93, vcc_lo
	s_waitcnt vmcnt(1)
	scratch_store_b128 off, v[120:123], off offset:280 ; 16-byte Folded Spill
	s_waitcnt vmcnt(0)
	v_mul_f64 v[102:103], v[98:99], v[122:123]
	v_mul_f64 v[106:107], v[96:97], v[122:123]
	s_delay_alu instid0(VALU_DEP_2) | instskip(NEXT) | instid1(VALU_DEP_2)
	v_fma_f64 v[96:97], v[96:97], v[120:121], v[102:103]
	v_fma_f64 v[98:99], v[98:99], v[120:121], -v[106:107]
	global_load_b128 v[120:123], v[100:101], off offset:3952
	global_load_b128 v[100:103], v[92:93], off
	v_add_co_u32 v92, vcc_lo, v92, s5
	v_add_co_ci_u32_e32 v93, vcc_lo, s4, v93, vcc_lo
	s_waitcnt vmcnt(1)
	scratch_store_b128 off, v[120:123], off offset:312 ; 16-byte Folded Spill
	s_waitcnt vmcnt(0)
	v_mul_f64 v[106:107], v[102:103], v[122:123]
	v_mul_f64 v[116:117], v[100:101], v[122:123]
	global_load_b128 v[122:125], v[104:105], off offset:2240
	v_fma_f64 v[100:101], v[100:101], v[120:121], v[106:107]
	global_load_b128 v[104:107], v[92:93], off
	v_fma_f64 v[102:103], v[102:103], v[120:121], -v[116:117]
	v_add_co_u32 v92, vcc_lo, v92, s5
	v_add_co_ci_u32_e32 v93, vcc_lo, s4, v93, vcc_lo
	s_waitcnt vmcnt(1)
	scratch_store_b128 off, v[122:125], off offset:152 ; 16-byte Folded Spill
	s_waitcnt vmcnt(0)
	v_mul_f64 v[116:117], v[106:107], v[124:125]
	v_mul_f64 v[120:121], v[104:105], v[124:125]
	global_load_b128 v[124:127], v[108:109], off offset:528
	v_fma_f64 v[104:105], v[104:105], v[122:123], v[116:117]
	v_fma_f64 v[106:107], v[106:107], v[122:123], -v[120:121]
	global_load_b128 v[120:123], v[92:93], off
	v_add_co_u32 v92, vcc_lo, v92, s5
	v_add_co_ci_u32_e32 v93, vcc_lo, s4, v93, vcc_lo
	s_waitcnt vmcnt(1)
	scratch_store_b128 off, v[124:127], off offset:392 ; 16-byte Folded Spill
	s_waitcnt vmcnt(0)
	v_mul_f64 v[108:109], v[122:123], v[126:127]
	v_mul_f64 v[116:117], v[120:121], v[126:127]
	s_delay_alu instid0(VALU_DEP_2)
	v_fma_f64 v[120:121], v[120:121], v[124:125], v[108:109]
	global_load_b128 v[128:131], v[110:111], off offset:2912
	global_load_b128 v[108:111], v[92:93], off
	v_fma_f64 v[122:123], v[122:123], v[124:125], -v[116:117]
	v_add_co_u32 v92, vcc_lo, v92, s5
	v_add_co_ci_u32_e32 v93, vcc_lo, s4, v93, vcc_lo
	s_waitcnt vmcnt(1)
	scratch_store_b128 off, v[128:131], off offset:472 ; 16-byte Folded Spill
	s_waitcnt vmcnt(0)
	v_mul_f64 v[116:117], v[110:111], v[130:131]
	v_mul_f64 v[126:127], v[108:109], v[130:131]
	s_delay_alu instid0(VALU_DEP_2) | instskip(SKIP_2) | instid1(VALU_DEP_4)
	v_fma_f64 v[124:125], v[108:109], v[128:129], v[116:117]
	v_add_co_u32 v108, vcc_lo, 0xf000, v95
	v_add_co_ci_u32_e32 v109, vcc_lo, 0, v118, vcc_lo
	v_fma_f64 v[126:127], v[110:111], v[128:129], -v[126:127]
	global_load_b128 v[128:131], v[92:93], off
	global_load_b128 v[132:135], v[108:109], off offset:1200
	v_cmp_gt_u16_e32 vcc_lo, 15, v119
	s_waitcnt vmcnt(0)
	v_mul_f64 v[92:93], v[130:131], v[134:135]
	v_mul_f64 v[110:111], v[128:129], v[134:135]
	scratch_store_b128 off, v[132:135], off offset:408 ; 16-byte Folded Spill
	v_fma_f64 v[128:129], v[128:129], v[132:133], v[92:93]
	v_fma_f64 v[130:131], v[130:131], v[132:133], -v[110:111]
	ds_store_b128 v94, v[0:3]
	ds_store_b128 v94, v[4:7] offset:6480
	ds_store_b128 v94, v[8:11] offset:12960
	;; [unrolled: 1-line block ×29, first 2 shown]
	s_load_b128 s[4:7], s[6:7], 0x0
	s_waitcnt lgkmcnt(0)
	s_waitcnt_vscnt null, 0x0
	s_barrier
	buffer_gl0_inv
	ds_load_b128 v[0:3], v94
	ds_load_b128 v[4:7], v94 offset:12960
	ds_load_b128 v[8:11], v94 offset:25920
	s_waitcnt lgkmcnt(1)
	v_add_f64 v[12:13], v[0:1], v[4:5]
	s_waitcnt lgkmcnt(0)
	v_add_f64 v[48:49], v[4:5], -v[8:9]
	v_add_f64 v[36:37], v[8:9], -v[4:5]
	;; [unrolled: 1-line block ×4, first 2 shown]
	v_add_f64 v[16:17], v[12:13], v[8:9]
	v_add_f64 v[12:13], v[2:3], v[6:7]
	s_delay_alu instid0(VALU_DEP_1)
	v_add_f64 v[18:19], v[12:13], v[10:11]
	ds_load_b128 v[12:15], v94 offset:38880
	s_waitcnt lgkmcnt(0)
	v_add_f64 v[68:69], v[8:9], v[12:13]
	v_add_f64 v[20:21], v[10:11], -v[14:15]
	v_add_f64 v[70:71], v[10:11], v[14:15]
	v_add_f64 v[22:23], v[8:9], -v[12:13]
	ds_load_b128 v[8:11], v94 offset:51840
	s_waitcnt lgkmcnt(0)
	v_add_f64 v[24:25], v[6:7], -v[10:11]
	v_add_f64 v[74:75], v[4:5], v[8:9]
	v_add_f64 v[26:27], v[4:5], -v[8:9]
	v_add_f64 v[78:79], v[6:7], v[10:11]
	v_add_f64 v[4:5], v[16:17], v[12:13]
	;; [unrolled: 1-line block ×3, first 2 shown]
	v_add_f64 v[56:57], v[8:9], -v[12:13]
	v_add_f64 v[40:41], v[12:13], -v[8:9]
	;; [unrolled: 1-line block ×4, first 2 shown]
	v_fma_f64 v[254:255], v[68:69], -0.5, v[0:1]
	v_fma_f64 v[70:71], v[70:71], -0.5, v[2:3]
	v_fma_f64 v[68:69], v[74:75], -0.5, v[0:1]
	v_fma_f64 v[74:75], v[78:79], -0.5, v[2:3]
	v_add_f64 v[72:73], v[4:5], v[8:9]
	v_add_f64 v[76:77], v[6:7], v[10:11]
	ds_load_b128 v[4:7], v94 offset:6480
	ds_load_b128 v[8:11], v94 offset:19440
	;; [unrolled: 1-line block ×3, first 2 shown]
	s_waitcnt lgkmcnt(1)
	v_add_f64 v[16:17], v[4:5], v[8:9]
	s_waitcnt lgkmcnt(0)
	v_add_f64 v[60:61], v[8:9], -v[12:13]
	v_add_f64 v[44:45], v[12:13], -v[8:9]
	;; [unrolled: 1-line block ×4, first 2 shown]
	v_add_f64 v[52:53], v[16:17], v[12:13]
	v_add_f64 v[16:17], v[6:7], v[10:11]
	s_delay_alu instid0(VALU_DEP_1)
	v_add_f64 v[54:55], v[16:17], v[14:15]
	ds_load_b128 v[16:19], v94 offset:45360
	s_waitcnt lgkmcnt(0)
	v_add_f64 v[80:81], v[12:13], v[16:17]
	v_add_f64 v[28:29], v[14:15], -v[18:19]
	v_add_f64 v[82:83], v[14:15], v[18:19]
	v_add_f64 v[30:31], v[12:13], -v[16:17]
	ds_load_b128 v[12:15], v94 offset:58320
	s_waitcnt lgkmcnt(0)
	v_add_f64 v[34:35], v[10:11], -v[14:15]
	v_add_f64 v[84:85], v[8:9], v[12:13]
	v_add_f64 v[32:33], v[8:9], -v[12:13]
	v_add_f64 v[86:87], v[10:11], v[14:15]
	v_add_f64 v[8:9], v[52:53], v[16:17]
	;; [unrolled: 1-line block ×3, first 2 shown]
	v_add_f64 v[64:65], v[12:13], -v[16:17]
	v_add_f64 v[52:53], v[16:17], -v[12:13]
	;; [unrolled: 1-line block ×4, first 2 shown]
	v_fma_f64 v[78:79], v[80:81], -0.5, v[4:5]
	v_fma_f64 v[0:1], v[82:83], -0.5, v[6:7]
	;; [unrolled: 1-line block ×4, first 2 shown]
	v_add_f64 v[88:89], v[8:9], v[12:13]
	v_add_f64 v[90:91], v[10:11], v[14:15]
	ds_load_b128 v[8:11], v94 offset:2160
	ds_load_b128 v[12:15], v94 offset:15120
	;; [unrolled: 1-line block ×4, first 2 shown]
	v_add_f64 v[60:61], v[60:61], v[64:65]
	v_add_f64 v[62:63], v[62:63], v[66:67]
	;; [unrolled: 1-line block ×4, first 2 shown]
	s_waitcnt lgkmcnt(2)
	v_add_f64 v[92:93], v[8:9], v[12:13]
	s_waitcnt lgkmcnt(1)
	v_add_f64 v[100:101], v[12:13], -v[16:17]
	s_waitcnt lgkmcnt(0)
	v_add_f64 v[166:167], v[16:17], v[110:111]
	v_add_f64 v[96:97], v[16:17], -v[12:13]
	v_add_f64 v[168:169], v[18:19], v[112:113]
	v_add_f64 v[214:215], v[16:17], -v[110:111]
	v_add_f64 v[102:103], v[14:15], -v[18:19]
	;; [unrolled: 1-line block ×3, first 2 shown]
	v_add_f64 v[114:115], v[92:93], v[16:17]
	v_add_f64 v[92:93], v[10:11], v[14:15]
	v_fma_f64 v[80:81], v[166:167], -0.5, v[8:9]
	v_fma_f64 v[82:83], v[168:169], -0.5, v[10:11]
	s_delay_alu instid0(VALU_DEP_3)
	v_add_f64 v[116:117], v[92:93], v[18:19]
	v_add_f64 v[92:93], v[18:19], -v[112:113]
	ds_load_b128 v[16:19], v94 offset:54000
	s_waitcnt lgkmcnt(0)
	v_add_f64 v[104:105], v[14:15], -v[18:19]
	v_add_f64 v[178:179], v[12:13], v[16:17]
	v_add_f64 v[106:107], v[12:13], -v[16:17]
	v_add_f64 v[180:181], v[14:15], v[18:19]
	v_add_f64 v[12:13], v[114:115], v[110:111]
	v_add_f64 v[126:127], v[16:17], -v[110:111]
	v_add_f64 v[216:217], v[110:111], -v[16:17]
	;; [unrolled: 1-line block ×4, first 2 shown]
	v_add_f64 v[14:15], v[116:117], v[112:113]
	v_fma_f64 v[178:179], v[178:179], -0.5, v[8:9]
	v_fma_f64 v[166:167], v[180:181], -0.5, v[10:11]
	v_add_f64 v[174:175], v[12:13], v[16:17]
	s_delay_alu instid0(VALU_DEP_4)
	v_add_f64 v[176:177], v[14:15], v[18:19]
	ds_load_b128 v[12:15], v94 offset:8640
	ds_load_b128 v[16:19], v94 offset:21600
	;; [unrolled: 1-line block ×5, first 2 shown]
	s_waitcnt lgkmcnt(3)
	v_add_f64 v[110:111], v[12:13], v[16:17]
	s_waitcnt lgkmcnt(2)
	v_add_f64 v[134:135], v[16:17], -v[112:113]
	v_add_f64 v[122:123], v[112:113], -v[16:17]
	s_waitcnt lgkmcnt(1)
	v_add_f64 v[184:185], v[114:115], v[132:133]
	v_add_f64 v[136:137], v[18:19], -v[114:115]
	v_add_f64 v[124:125], v[114:115], -v[18:19]
	s_waitcnt lgkmcnt(0)
	v_add_f64 v[116:117], v[18:19], -v[144:145]
	v_add_f64 v[190:191], v[16:17], v[142:143]
	v_add_f64 v[192:193], v[18:19], v[144:145]
	;; [unrolled: 1-line block ×5, first 2 shown]
	v_add_f64 v[112:113], v[112:113], -v[130:131]
	s_delay_alu instid0(VALU_DEP_4) | instskip(NEXT) | instid1(VALU_DEP_3)
	v_fma_f64 v[86:87], v[182:183], -0.5, v[12:13]
	v_add_f64 v[140:141], v[110:111], v[114:115]
	v_add_f64 v[110:111], v[114:115], -v[132:133]
	v_add_f64 v[114:115], v[16:17], -v[142:143]
	v_add_f64 v[16:17], v[138:139], v[130:131]
	v_add_f64 v[138:139], v[142:143], -v[130:131]
	v_add_f64 v[130:131], v[130:131], -v[142:143]
	;; [unrolled: 3-line block ×3, first 2 shown]
	v_add_f64 v[186:187], v[16:17], v[142:143]
	s_delay_alu instid0(VALU_DEP_4)
	v_add_f64 v[188:189], v[18:19], v[144:145]
	ds_load_b128 v[16:19], v94 offset:4320
	ds_load_b128 v[158:161], v94 offset:17280
	;; [unrolled: 1-line block ×8, first 2 shown]
	v_add_f64 v[4:5], v[174:175], v[186:187]
	v_add_f64 v[174:175], v[174:175], -v[186:187]
	v_mul_lo_u16 v186, v119, 10
	ds_load_b128 v[222:225], v94 offset:49680
	v_and_b32_e32 v186, 0xffff, v186
	s_waitcnt lgkmcnt(7)
	v_add_f64 v[142:143], v[16:17], v[158:159]
	s_waitcnt lgkmcnt(6)
	v_add_f64 v[154:155], v[158:159], -v[148:149]
	s_waitcnt lgkmcnt(5)
	v_add_f64 v[230:231], v[148:149], v[170:171]
	v_add_f64 v[146:147], v[148:149], -v[158:159]
	v_add_f64 v[144:145], v[148:149], -v[170:171]
	s_waitcnt lgkmcnt(4)
	v_add_f64 v[234:235], v[158:159], v[194:195]
	v_add_f64 v[152:153], v[158:159], -v[194:195]
	v_add_f64 v[158:159], v[170:171], -v[194:195]
	v_add_f64 v[232:233], v[150:151], v[172:173]
	v_add_f64 v[156:157], v[160:161], -v[150:151]
	v_add_f64 v[236:237], v[160:161], v[196:197]
	s_waitcnt lgkmcnt(1)
	v_add_f64 v[246:247], v[206:207], v[226:227]
	v_add_f64 v[204:205], v[208:209], -v[228:229]
	v_add_f64 v[248:249], v[208:209], v[228:229]
	v_add_f64 v[6:7], v[176:177], v[188:189]
	v_add_f64 v[176:177], v[176:177], -v[188:189]
	v_add_f64 v[188:189], v[50:51], v[58:59]
	v_fma_f64 v[50:51], v[32:33], s[20:21], v[0:1]
	v_fma_f64 v[0:1], v[32:33], s[18:19], v[0:1]
	v_add_f64 v[162:163], v[142:143], v[148:149]
	v_add_f64 v[142:143], v[18:19], v[160:161]
	v_add_f64 v[148:149], v[150:151], -v[160:161]
	v_fma_f64 v[168:169], v[230:231], -0.5, v[16:17]
	v_fma_f64 v[182:183], v[246:247], -0.5, v[218:219]
	v_fma_f64 v[50:51], v[30:31], s[16:17], v[50:51]
	v_fma_f64 v[0:1], v[30:31], s[14:15], v[0:1]
	v_add_f64 v[198:199], v[162:163], v[170:171]
	v_add_f64 v[164:165], v[142:143], v[150:151]
	v_add_f64 v[162:163], v[194:195], -v[170:171]
	v_add_f64 v[170:171], v[218:219], v[206:207]
	v_add_f64 v[142:143], v[150:151], -v[172:173]
	v_add_f64 v[150:151], v[160:161], -v[196:197]
	;; [unrolled: 1-line block ×3, first 2 shown]
	v_fma_f64 v[50:51], v[62:63], s[12:13], v[50:51]
	v_fma_f64 v[0:1], v[62:63], s[12:13], v[0:1]
	v_add_f64 v[238:239], v[198:199], v[194:195]
	v_add_f64 v[200:201], v[164:165], v[172:173]
	v_add_f64 v[164:165], v[196:197], -v[172:173]
	s_delay_alu instid0(VALU_DEP_2)
	v_add_f64 v[240:241], v[200:201], v[196:197]
	ds_load_b128 v[200:203], v94 offset:36720
	s_waitcnt lgkmcnt(0)
	s_barrier
	buffer_gl0_inv
	v_add_f64 v[210:211], v[170:171], v[200:201]
	v_add_f64 v[170:171], v[220:221], v[208:209]
	v_add_f64 v[242:243], v[200:201], v[222:223]
	v_add_f64 v[198:199], v[206:207], -v[200:201]
	v_add_f64 v[194:195], v[200:201], -v[206:207]
	v_add_f64 v[244:245], v[202:203], v[224:225]
	v_add_f64 v[172:173], v[200:201], -v[222:223]
	v_add_f64 v[200:201], v[208:209], -v[202:203]
	;; [unrolled: 1-line block ×4, first 2 shown]
	v_add_f64 v[250:251], v[210:211], v[222:223]
	v_add_f64 v[212:213], v[170:171], v[202:203]
	v_add_f64 v[170:171], v[202:203], -v[224:225]
	v_add_f64 v[202:203], v[206:207], -v[226:227]
	;; [unrolled: 1-line block ×4, first 2 shown]
	v_add_f64 v[222:223], v[72:73], v[88:89]
	v_fma_f64 v[180:181], v[242:243], -0.5, v[218:219]
	v_add_f64 v[250:251], v[250:251], v[226:227]
	v_add_f64 v[226:227], v[72:73], -v[88:89]
	v_fma_f64 v[88:89], v[192:193], -0.5, v[14:15]
	v_lshlrev_b32_e32 v192, 4, v186
	v_add_f64 v[186:187], v[48:49], v[56:57]
	v_fma_f64 v[48:49], v[34:35], s[18:19], v[78:79]
	v_add_f64 v[252:253], v[212:213], v[224:225]
	v_add_f64 v[212:213], v[228:229], -v[224:225]
	v_add_f64 v[224:225], v[76:77], v[90:91]
	v_fma_f64 v[72:73], v[248:249], -0.5, v[220:221]
	v_add_f64 v[8:9], v[238:239], v[250:251]
	v_fma_f64 v[48:49], v[28:29], s[14:15], v[48:49]
	v_add_f64 v[252:253], v[252:253], v[228:229]
	v_add_f64 v[228:229], v[76:77], -v[90:91]
	v_fma_f64 v[90:91], v[190:191], -0.5, v[12:13]
	v_fma_f64 v[190:191], v[184:185], -0.5, v[14:15]
	;; [unrolled: 1-line block ×6, first 2 shown]
	v_add_f64 v[12:13], v[238:239], -v[250:251]
	ds_store_b128 v192, v[222:225]
	ds_store_b128 v192, v[226:229] offset:80
	v_fma_f64 v[48:49], v[60:61], s[12:13], v[48:49]
	v_add_f64 v[10:11], v[240:241], v[252:253]
	v_add_f64 v[14:15], v[240:241], -v[252:253]
	scratch_store_b32 off, v192, off offset:1408 ; 4-byte Folded Spill
	v_mul_f64 v[56:57], v[48:49], s[22:23]
	v_mul_f64 v[48:49], v[48:49], s[16:17]
	s_delay_alu instid0(VALU_DEP_2) | instskip(NEXT) | instid1(VALU_DEP_2)
	v_fma_f64 v[56:57], v[50:51], s[14:15], v[56:57]
	v_fma_f64 v[58:59], v[50:51], s[22:23], v[48:49]
	;; [unrolled: 1-line block ×4, first 2 shown]
	s_delay_alu instid0(VALU_DEP_2) | instskip(NEXT) | instid1(VALU_DEP_2)
	v_fma_f64 v[48:49], v[20:21], s[14:15], v[48:49]
	v_fma_f64 v[50:51], v[22:23], s[16:17], v[50:51]
	s_delay_alu instid0(VALU_DEP_2) | instskip(NEXT) | instid1(VALU_DEP_2)
	v_fma_f64 v[64:65], v[186:187], s[12:13], v[48:49]
	v_fma_f64 v[66:67], v[188:189], s[12:13], v[50:51]
	s_delay_alu instid0(VALU_DEP_2)
	v_add_f64 v[48:49], v[64:65], v[56:57]
	v_add_f64 v[56:57], v[64:65], -v[56:57]
	v_add_f64 v[64:65], v[36:37], v[40:41]
	v_fma_f64 v[36:37], v[30:31], s[18:19], v[2:3]
	v_add_f64 v[50:51], v[66:67], v[58:59]
	v_add_f64 v[58:59], v[66:67], -v[58:59]
	v_add_f64 v[66:67], v[38:39], v[42:43]
	v_fma_f64 v[38:39], v[28:29], s[20:21], v[84:85]
	v_fma_f64 v[2:3], v[30:31], s[20:21], v[2:3]
	;; [unrolled: 1-line block ×4, first 2 shown]
	s_delay_alu instid0(VALU_DEP_4) | instskip(NEXT) | instid1(VALU_DEP_4)
	v_fma_f64 v[38:39], v[34:35], s[14:15], v[38:39]
	v_fma_f64 v[2:3], v[32:33], s[14:15], v[2:3]
	s_delay_alu instid0(VALU_DEP_4) | instskip(NEXT) | instid1(VALU_DEP_4)
	v_fma_f64 v[30:31], v[112:113], s[16:17], v[30:31]
	v_fma_f64 v[36:37], v[46:47], s[12:13], v[36:37]
	;; [unrolled: 3-line block ×3, first 2 shown]
	s_delay_alu instid0(VALU_DEP_3) | instskip(NEXT) | instid1(VALU_DEP_1)
	v_mul_f64 v[40:41], v[36:37], s[18:19]
	v_fma_f64 v[40:41], v[38:39], s[12:13], v[40:41]
	v_mul_f64 v[38:39], v[38:39], s[20:21]
	s_delay_alu instid0(VALU_DEP_1) | instskip(SKIP_2) | instid1(VALU_DEP_2)
	v_fma_f64 v[42:43], v[36:37], s[12:13], v[38:39]
	v_fma_f64 v[36:37], v[20:21], s[20:21], v[68:69]
	;; [unrolled: 1-line block ×4, first 2 shown]
	s_delay_alu instid0(VALU_DEP_2) | instskip(NEXT) | instid1(VALU_DEP_2)
	v_fma_f64 v[38:39], v[26:27], s[16:17], v[38:39]
	v_fma_f64 v[52:53], v[64:65], s[12:13], v[36:37]
	s_delay_alu instid0(VALU_DEP_2) | instskip(NEXT) | instid1(VALU_DEP_2)
	v_fma_f64 v[54:55], v[66:67], s[12:13], v[38:39]
	v_add_f64 v[36:37], v[52:53], v[40:41]
	v_add_f64 v[40:41], v[52:53], -v[40:41]
	v_fma_f64 v[52:53], v[20:21], s[18:19], v[68:69]
	s_delay_alu instid0(VALU_DEP_4)
	v_add_f64 v[38:39], v[54:55], v[42:43]
	v_add_f64 v[42:43], v[54:55], -v[42:43]
	v_fma_f64 v[54:55], v[22:23], s[20:21], v[74:75]
	v_add_f64 v[68:69], v[134:135], v[138:139]
	v_add_f64 v[74:75], v[96:97], v[216:217]
	;; [unrolled: 1-line block ×3, first 2 shown]
	v_fma_f64 v[52:53], v[24:25], s[16:17], v[52:53]
	v_fma_f64 v[24:25], v[24:25], s[20:21], v[254:255]
	;; [unrolled: 1-line block ×4, first 2 shown]
	v_add_f64 v[70:71], v[136:137], v[140:141]
	v_fma_f64 v[52:53], v[64:65], s[12:13], v[52:53]
	v_fma_f64 v[64:65], v[28:29], s[18:19], v[84:85]
	;; [unrolled: 1-line block ×6, first 2 shown]
	v_add_f64 v[84:85], v[122:123], v[130:131]
	v_fma_f64 v[64:65], v[34:35], s[16:17], v[64:65]
	v_fma_f64 v[24:25], v[186:187], s[12:13], v[20:21]
	;; [unrolled: 1-line block ×3, first 2 shown]
	s_delay_alu instid0(VALU_DEP_3) | instskip(NEXT) | instid1(VALU_DEP_1)
	v_fma_f64 v[44:45], v[44:45], s[12:13], v[64:65]
	v_mul_f64 v[46:47], v[44:45], s[24:25]
	s_delay_alu instid0(VALU_DEP_1) | instskip(SKIP_1) | instid1(VALU_DEP_1)
	v_fma_f64 v[64:65], v[2:3], s[18:19], v[46:47]
	v_mul_f64 v[2:3], v[2:3], s[24:25]
	v_fma_f64 v[2:3], v[44:45], s[20:21], v[2:3]
	s_delay_alu instid0(VALU_DEP_3) | instskip(SKIP_1) | instid1(VALU_DEP_3)
	v_add_f64 v[44:45], v[52:53], v[64:65]
	v_add_f64 v[52:53], v[52:53], -v[64:65]
	v_add_f64 v[46:47], v[54:55], v[2:3]
	v_add_f64 v[54:55], v[54:55], -v[2:3]
	v_fma_f64 v[2:3], v[34:35], s[20:21], v[78:79]
	v_add_f64 v[78:79], v[98:99], v[120:121]
	v_add_f64 v[120:121], v[196:197], v[208:209]
	s_delay_alu instid0(VALU_DEP_3) | instskip(NEXT) | instid1(VALU_DEP_1)
	v_fma_f64 v[2:3], v[28:29], s[16:17], v[2:3]
	v_fma_f64 v[2:3], v[60:61], s[12:13], v[2:3]
	s_delay_alu instid0(VALU_DEP_1) | instskip(NEXT) | instid1(VALU_DEP_1)
	v_mul_f64 v[20:21], v[2:3], s[26:27]
	v_fma_f64 v[28:29], v[0:1], s[14:15], v[20:21]
	v_mul_f64 v[0:1], v[0:1], s[26:27]
	s_delay_alu instid0(VALU_DEP_2) | instskip(SKIP_2) | instid1(VALU_DEP_4)
	v_add_f64 v[20:21], v[24:25], v[28:29]
	v_add_f64 v[24:25], v[24:25], -v[28:29]
	v_fma_f64 v[28:29], v[116:117], s[18:19], v[86:87]
	v_fma_f64 v[0:1], v[2:3], s[16:17], v[0:1]
	v_add_f64 v[2:3], v[102:103], v[128:129]
	s_delay_alu instid0(VALU_DEP_3) | instskip(NEXT) | instid1(VALU_DEP_3)
	v_fma_f64 v[28:29], v[110:111], s[14:15], v[28:29]
	v_add_f64 v[22:23], v[26:27], v[0:1]
	v_add_f64 v[26:27], v[26:27], -v[0:1]
	v_add_f64 v[0:1], v[100:101], v[126:127]
	ds_store_b128 v192, v[48:51] offset:16
	ds_store_b128 v192, v[36:39] offset:32
	;; [unrolled: 1-line block ×8, first 2 shown]
	v_fma_f64 v[28:29], v[68:69], s[12:13], v[28:29]
	s_delay_alu instid0(VALU_DEP_1) | instskip(SKIP_1) | instid1(VALU_DEP_2)
	v_mul_f64 v[32:33], v[28:29], s[22:23]
	v_mul_f64 v[28:29], v[28:29], s[16:17]
	v_fma_f64 v[32:33], v[30:31], s[14:15], v[32:33]
	s_delay_alu instid0(VALU_DEP_2) | instskip(SKIP_2) | instid1(VALU_DEP_2)
	v_fma_f64 v[34:35], v[30:31], s[22:23], v[28:29]
	v_fma_f64 v[28:29], v[104:105], s[18:19], v[80:81]
	;; [unrolled: 1-line block ×4, first 2 shown]
	s_delay_alu instid0(VALU_DEP_2) | instskip(NEXT) | instid1(VALU_DEP_2)
	v_fma_f64 v[30:31], v[214:215], s[16:17], v[30:31]
	v_fma_f64 v[60:61], v[0:1], s[12:13], v[28:29]
	s_delay_alu instid0(VALU_DEP_2) | instskip(NEXT) | instid1(VALU_DEP_2)
	v_fma_f64 v[62:63], v[2:3], s[12:13], v[30:31]
	v_add_f64 v[28:29], v[60:61], v[32:33]
	v_add_f64 v[32:33], v[60:61], -v[32:33]
	v_fma_f64 v[60:61], v[112:113], s[18:19], v[88:89]
	s_delay_alu instid0(VALU_DEP_4)
	v_add_f64 v[30:31], v[62:63], v[34:35]
	v_add_f64 v[34:35], v[62:63], -v[34:35]
	v_fma_f64 v[62:63], v[110:111], s[20:21], v[90:91]
	v_fma_f64 v[90:91], v[110:111], s[18:19], v[90:91]
	;; [unrolled: 1-line block ×4, first 2 shown]
	s_delay_alu instid0(VALU_DEP_4) | instskip(NEXT) | instid1(VALU_DEP_4)
	v_fma_f64 v[62:63], v[116:117], s[14:15], v[62:63]
	v_fma_f64 v[90:91], v[116:117], s[16:17], v[90:91]
	s_delay_alu instid0(VALU_DEP_4) | instskip(NEXT) | instid1(VALU_DEP_4)
	v_fma_f64 v[88:89], v[114:115], s[14:15], v[88:89]
	v_fma_f64 v[60:61], v[96:97], s[12:13], v[60:61]
	;; [unrolled: 3-line block ×3, first 2 shown]
	s_delay_alu instid0(VALU_DEP_4) | instskip(NEXT) | instid1(VALU_DEP_4)
	v_fma_f64 v[88:89], v[96:97], s[12:13], v[88:89]
	v_mul_f64 v[64:65], v[60:61], s[18:19]
	s_delay_alu instid0(VALU_DEP_3) | instskip(NEXT) | instid1(VALU_DEP_2)
	v_mul_f64 v[90:91], v[84:85], s[24:25]
	v_fma_f64 v[64:65], v[62:63], s[12:13], v[64:65]
	v_mul_f64 v[62:63], v[62:63], s[20:21]
	s_delay_alu instid0(VALU_DEP_3) | instskip(SKIP_1) | instid1(VALU_DEP_3)
	v_fma_f64 v[96:97], v[88:89], s[18:19], v[90:91]
	v_mul_f64 v[88:89], v[88:89], s[24:25]
	v_fma_f64 v[66:67], v[60:61], s[12:13], v[62:63]
	v_fma_f64 v[60:61], v[92:93], s[20:21], v[178:179]
	;; [unrolled: 1-line block ×3, first 2 shown]
	s_delay_alu instid0(VALU_DEP_4) | instskip(NEXT) | instid1(VALU_DEP_3)
	v_fma_f64 v[84:85], v[84:85], s[20:21], v[88:89]
	v_fma_f64 v[60:61], v[104:105], s[14:15], v[60:61]
	s_delay_alu instid0(VALU_DEP_3) | instskip(NEXT) | instid1(VALU_DEP_2)
	v_fma_f64 v[62:63], v[106:107], s[16:17], v[62:63]
	v_fma_f64 v[98:99], v[74:75], s[12:13], v[60:61]
	s_delay_alu instid0(VALU_DEP_2) | instskip(NEXT) | instid1(VALU_DEP_2)
	v_fma_f64 v[100:101], v[78:79], s[12:13], v[62:63]
	v_add_f64 v[60:61], v[98:99], v[64:65]
	v_add_f64 v[64:65], v[98:99], -v[64:65]
	v_fma_f64 v[98:99], v[92:93], s[18:19], v[178:179]
	s_delay_alu instid0(VALU_DEP_4) | instskip(SKIP_4) | instid1(VALU_DEP_3)
	v_add_f64 v[62:63], v[100:101], v[66:67]
	v_add_f64 v[66:67], v[100:101], -v[66:67]
	v_fma_f64 v[100:101], v[152:153], s[20:21], v[16:17]
	v_fma_f64 v[16:17], v[152:153], s[18:19], v[16:17]
	;; [unrolled: 1-line block ×4, first 2 shown]
	s_delay_alu instid0(VALU_DEP_3) | instskip(NEXT) | instid1(VALU_DEP_3)
	v_fma_f64 v[16:17], v[144:145], s[14:15], v[16:17]
	v_fma_f64 v[74:75], v[74:75], s[12:13], v[98:99]
	;; [unrolled: 1-line block ×3, first 2 shown]
	s_delay_alu instid0(VALU_DEP_2) | instskip(NEXT) | instid1(VALU_DEP_2)
	v_add_f64 v[88:89], v[74:75], v[96:97]
	v_fma_f64 v[98:99], v[106:107], s[14:15], v[98:99]
	v_add_f64 v[96:97], v[74:75], -v[96:97]
	v_fma_f64 v[74:75], v[116:117], s[20:21], v[86:87]
	s_delay_alu instid0(VALU_DEP_3) | instskip(NEXT) | instid1(VALU_DEP_2)
	v_fma_f64 v[78:79], v[78:79], s[12:13], v[98:99]
	v_fma_f64 v[74:75], v[110:111], s[16:17], v[74:75]
	;; [unrolled: 1-line block ×4, first 2 shown]
	s_delay_alu instid0(VALU_DEP_4)
	v_add_f64 v[90:91], v[78:79], v[84:85]
	v_add_f64 v[98:99], v[78:79], -v[84:85]
	v_fma_f64 v[78:79], v[104:105], s[20:21], v[80:81]
	v_fma_f64 v[80:81], v[106:107], s[18:19], v[82:83]
	;; [unrolled: 1-line block ×9, first 2 shown]
	v_mul_f64 v[74:75], v[68:69], s[26:27]
	v_fma_f64 v[112:113], v[170:171], s[20:21], v[182:183]
	v_fma_f64 v[110:111], v[120:121], s[12:13], v[110:111]
	;; [unrolled: 1-line block ×9, first 2 shown]
	v_mul_f64 v[114:115], v[110:111], s[18:19]
	v_fma_f64 v[18:19], v[202:203], s[18:19], v[18:19]
	v_fma_f64 v[120:121], v[142:143], s[16:17], v[120:121]
	;; [unrolled: 1-line block ×3, first 2 shown]
	v_mul_f64 v[70:71], v[70:71], s[26:27]
	v_fma_f64 v[78:79], v[172:173], s[16:17], v[78:79]
	v_fma_f64 v[18:19], v[172:173], s[14:15], v[18:19]
	s_delay_alu instid0(VALU_DEP_4) | instskip(NEXT) | instid1(VALU_DEP_4)
	v_add_f64 v[80:81], v[0:1], v[74:75]
	v_fma_f64 v[68:69], v[68:69], s[16:17], v[70:71]
	v_add_f64 v[84:85], v[0:1], -v[74:75]
	v_fma_f64 v[74:75], v[204:205], s[18:19], v[180:181]
	v_add_f64 v[70:71], v[200:201], v[212:213]
	v_add_f64 v[0:1], v[154:155], v[162:163]
	;; [unrolled: 1-line block ×3, first 2 shown]
	v_add_f64 v[86:87], v[2:3], -v[68:69]
	v_add_f64 v[68:69], v[198:199], v[210:211]
	v_fma_f64 v[74:75], v[170:171], s[14:15], v[74:75]
	v_fma_f64 v[78:79], v[70:71], s[12:13], v[78:79]
	v_add_f64 v[2:3], v[156:157], v[164:165]
	s_delay_alu instid0(VALU_DEP_3) | instskip(NEXT) | instid1(VALU_DEP_2)
	v_fma_f64 v[74:75], v[68:69], s[12:13], v[74:75]
	v_fma_f64 v[106:107], v[2:3], s[12:13], v[100:101]
	;; [unrolled: 1-line block ×4, first 2 shown]
	s_delay_alu instid0(VALU_DEP_4) | instskip(SKIP_1) | instid1(VALU_DEP_2)
	v_mul_f64 v[92:93], v[74:75], s[22:23]
	v_mul_f64 v[74:75], v[74:75], s[16:17]
	v_fma_f64 v[92:93], v[78:79], s[14:15], v[92:93]
	s_delay_alu instid0(VALU_DEP_2) | instskip(SKIP_1) | instid1(VALU_DEP_2)
	v_fma_f64 v[74:75], v[78:79], s[22:23], v[74:75]
	v_fma_f64 v[78:79], v[150:151], s[18:19], v[168:169]
	v_add_f64 v[102:103], v[106:107], v[74:75]
	s_delay_alu instid0(VALU_DEP_2) | instskip(SKIP_2) | instid1(VALU_DEP_3)
	v_fma_f64 v[78:79], v[142:143], s[14:15], v[78:79]
	v_add_f64 v[106:107], v[106:107], -v[74:75]
	v_add_f64 v[74:75], v[146:147], v[158:159]
	v_fma_f64 v[78:79], v[0:1], s[12:13], v[78:79]
	v_fma_f64 v[0:1], v[0:1], s[12:13], v[120:121]
	s_delay_alu instid0(VALU_DEP_2) | instskip(SKIP_3) | instid1(VALU_DEP_2)
	v_add_f64 v[100:101], v[78:79], v[92:93]
	v_add_f64 v[104:105], v[78:79], -v[92:93]
	v_add_f64 v[92:93], v[194:195], v[206:207]
	v_add_f64 v[78:79], v[148:149], v[160:161]
	v_fma_f64 v[112:113], v[92:93], s[12:13], v[112:113]
	s_delay_alu instid0(VALU_DEP_1) | instskip(SKIP_1) | instid1(VALU_DEP_1)
	v_fma_f64 v[114:115], v[112:113], s[12:13], v[114:115]
	v_mul_f64 v[112:113], v[112:113], s[20:21]
	v_fma_f64 v[116:117], v[110:111], s[12:13], v[112:113]
	v_fma_f64 v[110:111], v[142:143], s[20:21], v[184:185]
	;; [unrolled: 1-line block ×3, first 2 shown]
	s_delay_alu instid0(VALU_DEP_2) | instskip(NEXT) | instid1(VALU_DEP_2)
	v_fma_f64 v[110:111], v[150:151], s[14:15], v[110:111]
	v_fma_f64 v[112:113], v[152:153], s[16:17], v[112:113]
	s_delay_alu instid0(VALU_DEP_2) | instskip(NEXT) | instid1(VALU_DEP_2)
	v_fma_f64 v[122:123], v[74:75], s[12:13], v[110:111]
	v_fma_f64 v[124:125], v[78:79], s[12:13], v[112:113]
	s_delay_alu instid0(VALU_DEP_2) | instskip(SKIP_2) | instid1(VALU_DEP_4)
	v_add_f64 v[110:111], v[122:123], v[114:115]
	v_add_f64 v[114:115], v[122:123], -v[114:115]
	v_fma_f64 v[122:123], v[142:143], s[18:19], v[184:185]
	v_add_f64 v[112:113], v[124:125], v[116:117]
	v_add_f64 v[116:117], v[124:125], -v[116:117]
	s_delay_alu instid0(VALU_DEP_3) | instskip(NEXT) | instid1(VALU_DEP_1)
	v_fma_f64 v[122:123], v[150:151], s[16:17], v[122:123]
	v_fma_f64 v[122:123], v[74:75], s[12:13], v[122:123]
	;; [unrolled: 1-line block ×3, first 2 shown]
	s_delay_alu instid0(VALU_DEP_1) | instskip(NEXT) | instid1(VALU_DEP_1)
	v_fma_f64 v[74:75], v[152:153], s[14:15], v[74:75]
	v_fma_f64 v[78:79], v[78:79], s[12:13], v[74:75]
	;; [unrolled: 1-line block ×3, first 2 shown]
	s_delay_alu instid0(VALU_DEP_1) | instskip(NEXT) | instid1(VALU_DEP_1)
	v_fma_f64 v[74:75], v[204:205], s[16:17], v[74:75]
	v_fma_f64 v[74:75], v[92:93], s[12:13], v[74:75]
	s_delay_alu instid0(VALU_DEP_1) | instskip(NEXT) | instid1(VALU_DEP_1)
	v_mul_f64 v[76:77], v[74:75], s[24:25]
	v_fma_f64 v[76:77], v[72:73], s[18:19], v[76:77]
	v_mul_f64 v[72:73], v[72:73], s[24:25]
	s_delay_alu instid0(VALU_DEP_1) | instskip(NEXT) | instid1(VALU_DEP_3)
	v_fma_f64 v[92:93], v[74:75], s[20:21], v[72:73]
	v_add_f64 v[72:73], v[122:123], v[76:77]
	v_add_f64 v[76:77], v[122:123], -v[76:77]
	s_delay_alu instid0(VALU_DEP_3) | instskip(SKIP_2) | instid1(VALU_DEP_1)
	v_add_f64 v[74:75], v[78:79], v[92:93]
	v_add_f64 v[78:79], v[78:79], -v[92:93]
	v_fma_f64 v[92:93], v[204:205], s[20:21], v[180:181]
	v_fma_f64 v[92:93], v[170:171], s[16:17], v[92:93]
	s_delay_alu instid0(VALU_DEP_1) | instskip(NEXT) | instid1(VALU_DEP_1)
	v_fma_f64 v[68:69], v[68:69], s[12:13], v[92:93]
	v_mul_f64 v[18:19], v[68:69], s[26:27]
	s_delay_alu instid0(VALU_DEP_1) | instskip(SKIP_1) | instid1(VALU_DEP_2)
	v_fma_f64 v[18:19], v[16:17], s[14:15], v[18:19]
	v_mul_f64 v[16:17], v[16:17], s[26:27]
	v_add_f64 v[120:121], v[0:1], -v[18:19]
	s_delay_alu instid0(VALU_DEP_2) | instskip(SKIP_2) | instid1(VALU_DEP_1)
	v_fma_f64 v[16:17], v[68:69], s[16:17], v[16:17]
	v_add_f64 v[68:69], v[0:1], v[18:19]
	v_and_b32_e32 v1, 0xffff, v119
	v_add_co_u32 v20, null, 0x10e, v1
	v_mov_b32_e32 v167, v1
	s_delay_alu instid0(VALU_DEP_1) | instskip(SKIP_3) | instid1(VALU_DEP_1)
	v_add_co_u32 v93, null, 0x2a3, v167
	v_add_f64 v[70:71], v[2:3], v[16:17]
	v_add_f64 v[122:123], v[2:3], -v[16:17]
	v_add_co_u32 v16, s29, 0x87, v1
	v_mul_u32_u24_e32 v0, 10, v16
	s_delay_alu instid0(VALU_DEP_1)
	v_lshlrev_b32_e32 v0, 4, v0
	scratch_store_b32 off, v0, off offset:1360 ; 4-byte Folded Spill
	ds_store_b128 v0, v[4:7]
	ds_store_b128 v0, v[28:31] offset:16
	ds_store_b128 v0, v[60:63] offset:32
	;; [unrolled: 1-line block ×9, first 2 shown]
	v_mul_u32_u24_e32 v0, 10, v20
	v_add_co_u32 v97, s28, 0x195, v167
	v_add_co_u32 v96, null, 0x21c, v167
	s_delay_alu instid0(VALU_DEP_3)
	v_lshlrev_b32_e32 v0, 4, v0
	scratch_store_b32 off, v0, off offset:1292 ; 4-byte Folded Spill
	ds_store_b128 v0, v[8:11]
	ds_store_b128 v0, v[100:103] offset:16
	ds_store_b128 v0, v[110:113] offset:32
	;; [unrolled: 1-line block ×9, first 2 shown]
	v_and_b32_e32 v0, 0xff, v119
	s_waitcnt lgkmcnt(0)
	s_waitcnt_vscnt null, 0x0
	s_barrier
	buffer_gl0_inv
	ds_load_b128 v[3:6], v94 offset:12960
	v_mul_lo_u16 v1, 0xcd, v0
	v_mul_lo_u16 v0, v0, 41
	s_delay_alu instid0(VALU_DEP_2) | instskip(NEXT) | instid1(VALU_DEP_1)
	v_lshrrev_b16 v1, 11, v1
	v_mul_lo_u16 v2, v1, 10
	v_and_b32_e32 v1, 0xffff, v1
	s_delay_alu instid0(VALU_DEP_2) | instskip(NEXT) | instid1(VALU_DEP_2)
	v_sub_nc_u16 v2, v119, v2
	v_mul_u32_u24_e32 v1, 50, v1
	s_delay_alu instid0(VALU_DEP_2) | instskip(NEXT) | instid1(VALU_DEP_1)
	v_and_b32_e32 v2, 0xff, v2
	v_lshlrev_b32_e32 v9, 6, v2
	s_delay_alu instid0(VALU_DEP_3)
	v_add_lshl_u32 v1, v1, v2, 4
	global_load_b128 v[10:13], v9, s[10:11]
	scratch_store_b32 off, v1, off offset:904 ; 4-byte Folded Spill
	s_waitcnt vmcnt(0) lgkmcnt(0)
	v_mul_f64 v[7:8], v[5:6], v[12:13]
	scratch_store_b128 off, v[10:13], off offset:1228 ; 16-byte Folded Spill
	v_fma_f64 v[17:18], v[3:4], v[10:11], -v[7:8]
	v_mul_f64 v[3:4], v[3:4], v[12:13]
	s_delay_alu instid0(VALU_DEP_1)
	v_fma_f64 v[21:22], v[5:6], v[10:11], v[3:4]
	global_load_b128 v[10:13], v9, s[10:11] offset:16
	ds_load_b128 v[3:6], v94 offset:25920
	s_waitcnt vmcnt(0) lgkmcnt(0)
	v_mul_f64 v[7:8], v[5:6], v[12:13]
	scratch_store_b128 off, v[10:13], off offset:1244 ; 16-byte Folded Spill
	v_fma_f64 v[23:24], v[3:4], v[10:11], -v[7:8]
	v_mul_f64 v[3:4], v[3:4], v[12:13]
	s_delay_alu instid0(VALU_DEP_1)
	v_fma_f64 v[25:26], v[5:6], v[10:11], v[3:4]
	global_load_b128 v[10:13], v9, s[10:11] offset:32
	ds_load_b128 v[3:6], v94 offset:38880
	s_waitcnt vmcnt(0) lgkmcnt(0)
	v_mul_f64 v[7:8], v[5:6], v[12:13]
	scratch_store_b128 off, v[10:13], off offset:1260 ; 16-byte Folded Spill
	v_fma_f64 v[27:28], v[3:4], v[10:11], -v[7:8]
	v_mul_f64 v[3:4], v[3:4], v[12:13]
	s_delay_alu instid0(VALU_DEP_2) | instskip(NEXT) | instid1(VALU_DEP_2)
	v_add_f64 v[77:78], v[23:24], -v[27:28]
	v_fma_f64 v[29:30], v[5:6], v[10:11], v[3:4]
	global_load_b128 v[9:12], v9, s[10:11] offset:48
	ds_load_b128 v[3:6], v94 offset:51840
	v_add_f64 v[57:58], v[25:26], -v[29:30]
	s_waitcnt vmcnt(0) lgkmcnt(0)
	v_mul_f64 v[7:8], v[5:6], v[11:12]
	scratch_store_b128 off, v[9:12], off offset:1276 ; 16-byte Folded Spill
	v_fma_f64 v[31:32], v[3:4], v[9:10], -v[7:8]
	v_mul_f64 v[3:4], v[3:4], v[11:12]
	s_delay_alu instid0(VALU_DEP_2) | instskip(NEXT) | instid1(VALU_DEP_2)
	v_add_f64 v[59:60], v[17:18], -v[31:32]
	v_fma_f64 v[33:34], v[5:6], v[9:10], v[3:4]
	v_and_b32_e32 v3, 0xffff, v16
	s_delay_alu instid0(VALU_DEP_1) | instskip(NEXT) | instid1(VALU_DEP_1)
	v_mul_u32_u24_e32 v3, 0xcccd, v3
	v_lshrrev_b32_e32 v3, 19, v3
	s_delay_alu instid0(VALU_DEP_1) | instskip(NEXT) | instid1(VALU_DEP_1)
	v_mul_lo_u16 v4, v3, 10
	v_sub_nc_u16 v19, v16, v4
	s_delay_alu instid0(VALU_DEP_1) | instskip(NEXT) | instid1(VALU_DEP_1)
	v_lshlrev_b16 v4, 2, v19
	v_and_b32_e32 v4, 0xffff, v4
	s_delay_alu instid0(VALU_DEP_1)
	v_lshlrev_b32_e32 v10, 4, v4
	ds_load_b128 v[4:7], v94 offset:15120
	v_add_f64 v[39:40], v[21:22], -v[33:34]
	global_load_b128 v[11:14], v10, s[10:11]
	s_waitcnt vmcnt(0) lgkmcnt(0)
	v_mul_f64 v[8:9], v[6:7], v[13:14]
	scratch_store_b128 off, v[11:14], off offset:1212 ; 16-byte Folded Spill
	v_fma_f64 v[41:42], v[4:5], v[11:12], -v[8:9]
	v_mul_f64 v[4:5], v[4:5], v[13:14]
	s_delay_alu instid0(VALU_DEP_1)
	v_fma_f64 v[43:44], v[6:7], v[11:12], v[4:5]
	global_load_b128 v[11:14], v10, s[10:11] offset:16
	ds_load_b128 v[4:7], v94 offset:28080
	s_waitcnt vmcnt(0) lgkmcnt(0)
	v_mul_f64 v[8:9], v[6:7], v[13:14]
	scratch_store_b128 off, v[11:14], off offset:1196 ; 16-byte Folded Spill
	v_fma_f64 v[45:46], v[4:5], v[11:12], -v[8:9]
	v_mul_f64 v[4:5], v[4:5], v[13:14]
	s_delay_alu instid0(VALU_DEP_1)
	v_fma_f64 v[47:48], v[6:7], v[11:12], v[4:5]
	global_load_b128 v[11:14], v10, s[10:11] offset:32
	ds_load_b128 v[4:7], v94 offset:41040
	s_waitcnt vmcnt(0) lgkmcnt(0)
	v_mul_f64 v[8:9], v[6:7], v[13:14]
	scratch_store_b128 off, v[11:14], off offset:1180 ; 16-byte Folded Spill
	v_fma_f64 v[49:50], v[4:5], v[11:12], -v[8:9]
	v_mul_f64 v[4:5], v[4:5], v[13:14]
	s_delay_alu instid0(VALU_DEP_2) | instskip(NEXT) | instid1(VALU_DEP_2)
	v_add_f64 v[102:103], v[45:46], -v[49:50]
	v_fma_f64 v[51:52], v[6:7], v[11:12], v[4:5]
	global_load_b128 v[10:13], v10, s[10:11] offset:48
	ds_load_b128 v[4:7], v94 offset:54000
	s_waitcnt vmcnt(0) lgkmcnt(0)
	v_mul_f64 v[8:9], v[6:7], v[12:13]
	scratch_store_b128 off, v[10:13], off offset:1100 ; 16-byte Folded Spill
	v_fma_f64 v[53:54], v[4:5], v[10:11], -v[8:9]
	v_mul_f64 v[4:5], v[4:5], v[12:13]
	s_delay_alu instid0(VALU_DEP_2) | instskip(NEXT) | instid1(VALU_DEP_2)
	v_add_f64 v[79:80], v[41:42], -v[53:54]
	v_fma_f64 v[55:56], v[6:7], v[10:11], v[4:5]
	v_and_b32_e32 v4, 0xffff, v20
	s_delay_alu instid0(VALU_DEP_1) | instskip(NEXT) | instid1(VALU_DEP_1)
	v_mul_u32_u24_e32 v4, 0xcccd, v4
	v_lshrrev_b32_e32 v156, 19, v4
	s_delay_alu instid0(VALU_DEP_1) | instskip(NEXT) | instid1(VALU_DEP_1)
	v_mul_lo_u16 v4, v156, 10
	v_sub_nc_u16 v157, v20, v4
	s_delay_alu instid0(VALU_DEP_1) | instskip(NEXT) | instid1(VALU_DEP_1)
	v_lshlrev_b16 v4, 2, v157
	v_and_b32_e32 v4, 0xffff, v4
	s_delay_alu instid0(VALU_DEP_1)
	v_lshlrev_b32_e32 v10, 4, v4
	ds_load_b128 v[4:7], v94 offset:17280
	global_load_b128 v[11:14], v10, s[10:11]
	s_waitcnt vmcnt(0) lgkmcnt(0)
	v_mul_f64 v[8:9], v[6:7], v[13:14]
	scratch_store_b128 off, v[11:14], off offset:1116 ; 16-byte Folded Spill
	v_fma_f64 v[61:62], v[4:5], v[11:12], -v[8:9]
	v_mul_f64 v[4:5], v[4:5], v[13:14]
	s_delay_alu instid0(VALU_DEP_1)
	v_fma_f64 v[63:64], v[6:7], v[11:12], v[4:5]
	global_load_b128 v[11:14], v10, s[10:11] offset:16
	ds_load_b128 v[4:7], v94 offset:30240
	s_waitcnt vmcnt(0) lgkmcnt(0)
	v_mul_f64 v[8:9], v[6:7], v[13:14]
	scratch_store_b128 off, v[11:14], off offset:1132 ; 16-byte Folded Spill
	v_fma_f64 v[65:66], v[4:5], v[11:12], -v[8:9]
	v_mul_f64 v[4:5], v[4:5], v[13:14]
	s_delay_alu instid0(VALU_DEP_1)
	v_fma_f64 v[67:68], v[6:7], v[11:12], v[4:5]
	global_load_b128 v[11:14], v10, s[10:11] offset:32
	ds_load_b128 v[4:7], v94 offset:43200
	s_waitcnt vmcnt(0) lgkmcnt(0)
	v_mul_f64 v[8:9], v[6:7], v[13:14]
	scratch_store_b128 off, v[11:14], off offset:1148 ; 16-byte Folded Spill
	v_fma_f64 v[69:70], v[4:5], v[11:12], -v[8:9]
	v_mul_f64 v[4:5], v[4:5], v[13:14]
	s_delay_alu instid0(VALU_DEP_2) | instskip(NEXT) | instid1(VALU_DEP_2)
	v_add_f64 v[126:127], v[65:66], -v[69:70]
	v_fma_f64 v[71:72], v[6:7], v[11:12], v[4:5]
	global_load_b128 v[10:13], v10, s[10:11] offset:48
	ds_load_b128 v[4:7], v94 offset:56160
	s_waitcnt vmcnt(0) lgkmcnt(0)
	v_mul_f64 v[8:9], v[6:7], v[12:13]
	scratch_store_b128 off, v[10:13], off offset:1164 ; 16-byte Folded Spill
	v_fma_f64 v[73:74], v[4:5], v[10:11], -v[8:9]
	v_mul_f64 v[4:5], v[4:5], v[12:13]
	s_delay_alu instid0(VALU_DEP_2) | instskip(NEXT) | instid1(VALU_DEP_2)
	v_add_f64 v[104:105], v[61:62], -v[73:74]
	v_fma_f64 v[75:76], v[6:7], v[10:11], v[4:5]
	v_and_b32_e32 v4, 0xffff, v97
	s_delay_alu instid0(VALU_DEP_1) | instskip(NEXT) | instid1(VALU_DEP_1)
	v_mul_u32_u24_e32 v4, 0xcccd, v4
	v_lshrrev_b32_e32 v158, 19, v4
	s_delay_alu instid0(VALU_DEP_1) | instskip(NEXT) | instid1(VALU_DEP_1)
	v_mul_lo_u16 v4, v158, 10
	v_sub_nc_u16 v159, v97, v4
	s_delay_alu instid0(VALU_DEP_1) | instskip(NEXT) | instid1(VALU_DEP_1)
	v_lshlrev_b16 v4, 2, v159
	v_and_b32_e32 v4, 0xffff, v4
	s_delay_alu instid0(VALU_DEP_1)
	v_lshlrev_b32_e32 v10, 4, v4
	ds_load_b128 v[4:7], v94 offset:19440
	;; [unrolled: 50-line block ×4, first 2 shown]
	global_load_b128 v[11:14], v10, s[10:11]
	s_waitcnt vmcnt(0) lgkmcnt(0)
	v_mul_f64 v[8:9], v[6:7], v[13:14]
	scratch_store_b128 off, v[11:14], off offset:956 ; 16-byte Folded Spill
	v_fma_f64 v[132:133], v[4:5], v[11:12], -v[8:9]
	v_mul_f64 v[4:5], v[4:5], v[13:14]
	s_delay_alu instid0(VALU_DEP_1)
	v_fma_f64 v[134:135], v[6:7], v[11:12], v[4:5]
	global_load_b128 v[11:14], v10, s[10:11] offset:16
	ds_load_b128 v[4:7], v94 offset:36720
	s_waitcnt vmcnt(0) lgkmcnt(0)
	v_mul_f64 v[8:9], v[6:7], v[13:14]
	scratch_store_b128 off, v[11:14], off offset:940 ; 16-byte Folded Spill
	v_fma_f64 v[136:137], v[4:5], v[11:12], -v[8:9]
	v_mul_f64 v[4:5], v[4:5], v[13:14]
	s_delay_alu instid0(VALU_DEP_1)
	v_fma_f64 v[138:139], v[6:7], v[11:12], v[4:5]
	global_load_b128 v[11:14], v10, s[10:11] offset:32
	ds_load_b128 v[4:7], v94 offset:49680
	s_waitcnt vmcnt(0) lgkmcnt(0)
	v_mul_f64 v[8:9], v[6:7], v[13:14]
	scratch_store_b128 off, v[11:14], off offset:924 ; 16-byte Folded Spill
	v_fma_f64 v[140:141], v[4:5], v[11:12], -v[8:9]
	v_mul_f64 v[4:5], v[4:5], v[13:14]
	s_delay_alu instid0(VALU_DEP_2) | instskip(NEXT) | instid1(VALU_DEP_2)
	v_add_f64 v[154:155], v[136:137], -v[140:141]
	v_fma_f64 v[142:143], v[6:7], v[11:12], v[4:5]
	global_load_b128 v[10:13], v10, s[10:11] offset:48
	ds_load_b128 v[4:7], v94 offset:62640
	s_waitcnt vmcnt(0) lgkmcnt(0)
	v_mul_f64 v[8:9], v[6:7], v[12:13]
	scratch_store_b128 off, v[10:13], off offset:908 ; 16-byte Folded Spill
	v_fma_f64 v[144:145], v[4:5], v[10:11], -v[8:9]
	v_mul_f64 v[4:5], v[4:5], v[12:13]
	v_add_f64 v[8:9], v[23:24], v[27:28]
	s_delay_alu instid0(VALU_DEP_3) | instskip(NEXT) | instid1(VALU_DEP_3)
	v_add_f64 v[152:153], v[132:133], -v[144:145]
	v_fma_f64 v[146:147], v[6:7], v[10:11], v[4:5]
	v_add_f64 v[4:5], v[17:18], -v[23:24]
	v_add_f64 v[6:7], v[31:32], -v[27:28]
	s_delay_alu instid0(VALU_DEP_1) | instskip(SKIP_2) | instid1(VALU_DEP_1)
	v_add_f64 v[12:13], v[4:5], v[6:7]
	v_add_f64 v[4:5], v[21:22], -v[25:26]
	v_add_f64 v[6:7], v[33:34], -v[29:30]
	v_add_f64 v[14:15], v[4:5], v[6:7]
	ds_load_b128 v[4:7], v94
	s_waitcnt lgkmcnt(0)
	v_fma_f64 v[35:36], v[8:9], -0.5, v[4:5]
	v_add_f64 v[8:9], v[25:26], v[29:30]
	s_delay_alu instid0(VALU_DEP_1) | instskip(NEXT) | instid1(VALU_DEP_3)
	v_fma_f64 v[37:38], v[8:9], -0.5, v[6:7]
	v_fma_f64 v[8:9], v[39:40], s[18:19], v[35:36]
	v_fma_f64 v[35:36], v[39:40], s[20:21], v[35:36]
	s_delay_alu instid0(VALU_DEP_3) | instskip(SKIP_1) | instid1(VALU_DEP_4)
	v_fma_f64 v[10:11], v[59:60], s[20:21], v[37:38]
	v_fma_f64 v[37:38], v[59:60], s[18:19], v[37:38]
	;; [unrolled: 1-line block ×3, first 2 shown]
	s_delay_alu instid0(VALU_DEP_4) | instskip(NEXT) | instid1(VALU_DEP_4)
	v_fma_f64 v[35:36], v[57:58], s[16:17], v[35:36]
	v_fma_f64 v[10:11], v[77:78], s[16:17], v[10:11]
	s_delay_alu instid0(VALU_DEP_4) | instskip(NEXT) | instid1(VALU_DEP_4)
	v_fma_f64 v[37:38], v[77:78], s[14:15], v[37:38]
	v_fma_f64 v[8:9], v[12:13], s[12:13], v[8:9]
	s_delay_alu instid0(VALU_DEP_4) | instskip(SKIP_4) | instid1(VALU_DEP_4)
	v_fma_f64 v[12:13], v[12:13], s[12:13], v[35:36]
	v_add_f64 v[35:36], v[17:18], v[31:32]
	v_fma_f64 v[10:11], v[14:15], s[12:13], v[10:11]
	v_fma_f64 v[14:15], v[14:15], s[12:13], v[37:38]
	v_add_f64 v[37:38], v[21:22], v[33:34]
	v_fma_f64 v[35:36], v[35:36], -0.5, v[4:5]
	v_add_f64 v[4:5], v[4:5], v[17:18]
	v_add_f64 v[17:18], v[23:24], -v[17:18]
	s_delay_alu instid0(VALU_DEP_4) | instskip(SKIP_4) | instid1(VALU_DEP_4)
	v_fma_f64 v[37:38], v[37:38], -0.5, v[6:7]
	v_add_f64 v[6:7], v[6:7], v[21:22]
	v_add_f64 v[21:22], v[25:26], -v[21:22]
	v_add_f64 v[4:5], v[4:5], v[23:24]
	v_add_f64 v[23:24], v[27:28], -v[31:32]
	;; [unrolled: 2-line block ×3, first 2 shown]
	s_delay_alu instid0(VALU_DEP_4)
	v_add_f64 v[4:5], v[4:5], v[27:28]
	v_fma_f64 v[27:28], v[57:58], s[20:21], v[35:36]
	v_add_f64 v[17:18], v[17:18], v[23:24]
	v_add_f64 v[6:7], v[6:7], v[29:30]
	v_fma_f64 v[29:30], v[57:58], s[18:19], v[35:36]
	v_add_f64 v[35:36], v[21:22], v[25:26]
	v_fma_f64 v[21:22], v[39:40], s[14:15], v[27:28]
	v_add_f64 v[4:5], v[4:5], v[31:32]
	v_fma_f64 v[31:32], v[77:78], s[18:19], v[37:38]
	v_add_f64 v[6:7], v[6:7], v[33:34]
	v_fma_f64 v[25:26], v[39:40], s[16:17], v[29:30]
	v_add_f64 v[29:30], v[53:54], -v[49:50]
	v_fma_f64 v[21:22], v[17:18], s[12:13], v[21:22]
	v_fma_f64 v[33:34], v[77:78], s[20:21], v[37:38]
	v_fma_f64 v[23:24], v[59:60], s[16:17], v[31:32]
	v_add_f64 v[31:32], v[55:56], -v[51:52]
	v_add_f64 v[77:78], v[47:48], -v[51:52]
	v_fma_f64 v[25:26], v[17:18], s[12:13], v[25:26]
	v_add_f64 v[17:18], v[41:42], -v[45:46]
	v_fma_f64 v[27:28], v[59:60], s[14:15], v[33:34]
	v_add_f64 v[33:34], v[45:46], v[49:50]
	v_add_f64 v[59:60], v[43:44], -v[55:56]
	v_fma_f64 v[23:24], v[35:36], s[12:13], v[23:24]
	v_add_f64 v[17:18], v[17:18], v[29:30]
	v_add_f64 v[29:30], v[43:44], -v[47:48]
	v_fma_f64 v[27:28], v[35:36], s[12:13], v[27:28]
	s_delay_alu instid0(VALU_DEP_2) | instskip(SKIP_4) | instid1(VALU_DEP_1)
	v_add_f64 v[39:40], v[29:30], v[31:32]
	ds_load_b128 v[29:32], v94 offset:2160
	s_waitcnt lgkmcnt(0)
	v_fma_f64 v[37:38], v[33:34], -0.5, v[29:30]
	v_add_f64 v[33:34], v[47:48], v[51:52]
	v_fma_f64 v[57:58], v[33:34], -0.5, v[31:32]
	s_delay_alu instid0(VALU_DEP_3) | instskip(SKIP_1) | instid1(VALU_DEP_3)
	v_fma_f64 v[33:34], v[59:60], s[18:19], v[37:38]
	v_fma_f64 v[37:38], v[59:60], s[20:21], v[37:38]
	;; [unrolled: 1-line block ×3, first 2 shown]
	s_delay_alu instid0(VALU_DEP_3) | instskip(SKIP_1) | instid1(VALU_DEP_4)
	v_fma_f64 v[33:34], v[77:78], s[14:15], v[33:34]
	v_fma_f64 v[57:58], v[79:80], s[18:19], v[57:58]
	;; [unrolled: 1-line block ×3, first 2 shown]
	s_delay_alu instid0(VALU_DEP_4) | instskip(NEXT) | instid1(VALU_DEP_4)
	v_fma_f64 v[35:36], v[102:103], s[16:17], v[35:36]
	v_fma_f64 v[33:34], v[17:18], s[12:13], v[33:34]
	s_delay_alu instid0(VALU_DEP_4) | instskip(NEXT) | instid1(VALU_DEP_4)
	v_fma_f64 v[57:58], v[102:103], s[14:15], v[57:58]
	v_fma_f64 v[37:38], v[17:18], s[12:13], v[37:38]
	v_add_f64 v[17:18], v[41:42], v[53:54]
	v_fma_f64 v[35:36], v[39:40], s[12:13], v[35:36]
	s_delay_alu instid0(VALU_DEP_4) | instskip(SKIP_1) | instid1(VALU_DEP_4)
	v_fma_f64 v[39:40], v[39:40], s[12:13], v[57:58]
	v_add_f64 v[57:58], v[43:44], v[55:56]
	v_fma_f64 v[17:18], v[17:18], -0.5, v[29:30]
	v_add_f64 v[29:30], v[29:30], v[41:42]
	v_add_f64 v[41:42], v[45:46], -v[41:42]
	s_delay_alu instid0(VALU_DEP_4) | instskip(SKIP_1) | instid1(VALU_DEP_4)
	v_fma_f64 v[57:58], v[57:58], -0.5, v[31:32]
	v_add_f64 v[31:32], v[31:32], v[43:44]
	v_add_f64 v[29:30], v[29:30], v[45:46]
	v_add_f64 v[43:44], v[47:48], -v[43:44]
	v_add_f64 v[45:46], v[49:50], -v[53:54]
	s_delay_alu instid0(VALU_DEP_4) | instskip(NEXT) | instid1(VALU_DEP_4)
	v_add_f64 v[31:32], v[31:32], v[47:48]
	v_add_f64 v[29:30], v[29:30], v[49:50]
	v_add_f64 v[47:48], v[51:52], -v[55:56]
	v_fma_f64 v[49:50], v[77:78], s[20:21], v[17:18]
	v_fma_f64 v[17:18], v[77:78], s[18:19], v[17:18]
	v_add_f64 v[45:46], v[41:42], v[45:46]
	v_add_f64 v[31:32], v[31:32], v[51:52]
	;; [unrolled: 1-line block ×3, first 2 shown]
	v_fma_f64 v[51:52], v[102:103], s[18:19], v[57:58]
	v_fma_f64 v[53:54], v[102:103], s[20:21], v[57:58]
	v_add_f64 v[47:48], v[43:44], v[47:48]
	v_fma_f64 v[41:42], v[59:60], s[14:15], v[49:50]
	v_fma_f64 v[17:18], v[59:60], s[16:17], v[17:18]
	v_add_f64 v[102:103], v[67:68], -v[71:72]
	v_add_f64 v[31:32], v[31:32], v[55:56]
	v_fma_f64 v[43:44], v[79:80], s[16:17], v[51:52]
	v_fma_f64 v[49:50], v[79:80], s[14:15], v[53:54]
	v_add_f64 v[51:52], v[75:76], -v[71:72]
	v_fma_f64 v[41:42], v[45:46], s[12:13], v[41:42]
	v_fma_f64 v[45:46], v[45:46], s[12:13], v[17:18]
	v_add_f64 v[17:18], v[61:62], -v[65:66]
	v_add_f64 v[53:54], v[65:66], v[69:70]
	v_add_f64 v[79:80], v[63:64], -v[75:76]
	v_fma_f64 v[43:44], v[47:48], s[12:13], v[43:44]
	v_fma_f64 v[47:48], v[47:48], s[12:13], v[49:50]
	v_add_f64 v[49:50], v[73:74], -v[69:70]
	s_delay_alu instid0(VALU_DEP_1) | instskip(SKIP_1) | instid1(VALU_DEP_1)
	v_add_f64 v[17:18], v[17:18], v[49:50]
	v_add_f64 v[49:50], v[63:64], -v[67:68]
	v_add_f64 v[59:60], v[49:50], v[51:52]
	ds_load_b128 v[49:52], v94 offset:4320
	s_waitcnt lgkmcnt(0)
	v_fma_f64 v[57:58], v[53:54], -0.5, v[49:50]
	v_add_f64 v[53:54], v[67:68], v[71:72]
	s_delay_alu instid0(VALU_DEP_1) | instskip(NEXT) | instid1(VALU_DEP_3)
	v_fma_f64 v[77:78], v[53:54], -0.5, v[51:52]
	v_fma_f64 v[53:54], v[79:80], s[18:19], v[57:58]
	v_fma_f64 v[57:58], v[79:80], s[20:21], v[57:58]
	s_delay_alu instid0(VALU_DEP_3) | instskip(NEXT) | instid1(VALU_DEP_3)
	v_fma_f64 v[55:56], v[104:105], s[20:21], v[77:78]
	v_fma_f64 v[53:54], v[102:103], s[14:15], v[53:54]
	;; [unrolled: 1-line block ×3, first 2 shown]
	s_delay_alu instid0(VALU_DEP_4) | instskip(NEXT) | instid1(VALU_DEP_4)
	v_fma_f64 v[57:58], v[102:103], s[16:17], v[57:58]
	v_fma_f64 v[55:56], v[126:127], s[16:17], v[55:56]
	s_delay_alu instid0(VALU_DEP_4) | instskip(NEXT) | instid1(VALU_DEP_4)
	v_fma_f64 v[53:54], v[17:18], s[12:13], v[53:54]
	v_fma_f64 v[77:78], v[126:127], s[14:15], v[77:78]
	s_delay_alu instid0(VALU_DEP_4) | instskip(SKIP_2) | instid1(VALU_DEP_4)
	v_fma_f64 v[57:58], v[17:18], s[12:13], v[57:58]
	v_add_f64 v[17:18], v[61:62], v[73:74]
	v_fma_f64 v[55:56], v[59:60], s[12:13], v[55:56]
	v_fma_f64 v[59:60], v[59:60], s[12:13], v[77:78]
	v_add_f64 v[77:78], v[63:64], v[75:76]
	s_delay_alu instid0(VALU_DEP_4) | instskip(SKIP_2) | instid1(VALU_DEP_4)
	v_fma_f64 v[17:18], v[17:18], -0.5, v[49:50]
	v_add_f64 v[49:50], v[49:50], v[61:62]
	v_add_f64 v[61:62], v[65:66], -v[61:62]
	v_fma_f64 v[77:78], v[77:78], -0.5, v[51:52]
	v_add_f64 v[51:52], v[51:52], v[63:64]
	s_delay_alu instid0(VALU_DEP_4) | instskip(SKIP_2) | instid1(VALU_DEP_4)
	v_add_f64 v[49:50], v[49:50], v[65:66]
	v_add_f64 v[63:64], v[67:68], -v[63:64]
	v_add_f64 v[65:66], v[69:70], -v[73:74]
	v_add_f64 v[51:52], v[51:52], v[67:68]
	s_delay_alu instid0(VALU_DEP_4)
	v_add_f64 v[49:50], v[49:50], v[69:70]
	v_add_f64 v[67:68], v[71:72], -v[75:76]
	v_fma_f64 v[69:70], v[102:103], s[20:21], v[17:18]
	v_fma_f64 v[17:18], v[102:103], s[18:19], v[17:18]
	v_add_f64 v[65:66], v[61:62], v[65:66]
	v_add_f64 v[51:52], v[51:52], v[71:72]
	;; [unrolled: 1-line block ×3, first 2 shown]
	v_fma_f64 v[71:72], v[126:127], s[18:19], v[77:78]
	v_fma_f64 v[73:74], v[126:127], s[20:21], v[77:78]
	v_add_f64 v[67:68], v[63:64], v[67:68]
	v_fma_f64 v[61:62], v[79:80], s[14:15], v[69:70]
	v_fma_f64 v[17:18], v[79:80], s[16:17], v[17:18]
	v_add_f64 v[126:127], v[87:88], -v[91:92]
	v_add_f64 v[51:52], v[51:52], v[75:76]
	v_fma_f64 v[63:64], v[104:105], s[16:17], v[71:72]
	v_fma_f64 v[69:70], v[104:105], s[14:15], v[73:74]
	v_add_f64 v[71:72], v[100:101], -v[91:92]
	v_fma_f64 v[61:62], v[65:66], s[12:13], v[61:62]
	v_fma_f64 v[65:66], v[65:66], s[12:13], v[17:18]
	v_add_f64 v[17:18], v[81:82], -v[85:86]
	v_add_f64 v[73:74], v[85:86], v[89:90]
	v_add_f64 v[104:105], v[83:84], -v[100:101]
	v_fma_f64 v[63:64], v[67:68], s[12:13], v[63:64]
	v_fma_f64 v[67:68], v[67:68], s[12:13], v[69:70]
	v_add_f64 v[69:70], v[98:99], -v[89:90]
	s_delay_alu instid0(VALU_DEP_1) | instskip(SKIP_1) | instid1(VALU_DEP_1)
	v_add_f64 v[17:18], v[17:18], v[69:70]
	v_add_f64 v[69:70], v[83:84], -v[87:88]
	v_add_f64 v[79:80], v[69:70], v[71:72]
	ds_load_b128 v[69:72], v94 offset:6480
	s_waitcnt lgkmcnt(0)
	v_fma_f64 v[77:78], v[73:74], -0.5, v[69:70]
	v_add_f64 v[73:74], v[87:88], v[91:92]
	s_delay_alu instid0(VALU_DEP_1) | instskip(NEXT) | instid1(VALU_DEP_3)
	v_fma_f64 v[102:103], v[73:74], -0.5, v[71:72]
	v_fma_f64 v[73:74], v[104:105], s[18:19], v[77:78]
	v_fma_f64 v[77:78], v[104:105], s[20:21], v[77:78]
	s_delay_alu instid0(VALU_DEP_3) | instskip(NEXT) | instid1(VALU_DEP_3)
	v_fma_f64 v[75:76], v[128:129], s[20:21], v[102:103]
	v_fma_f64 v[73:74], v[126:127], s[14:15], v[73:74]
	;; [unrolled: 1-line block ×3, first 2 shown]
	s_delay_alu instid0(VALU_DEP_4) | instskip(NEXT) | instid1(VALU_DEP_4)
	v_fma_f64 v[77:78], v[126:127], s[16:17], v[77:78]
	v_fma_f64 v[75:76], v[130:131], s[16:17], v[75:76]
	s_delay_alu instid0(VALU_DEP_4) | instskip(NEXT) | instid1(VALU_DEP_4)
	v_fma_f64 v[73:74], v[17:18], s[12:13], v[73:74]
	v_fma_f64 v[102:103], v[130:131], s[14:15], v[102:103]
	s_delay_alu instid0(VALU_DEP_4) | instskip(SKIP_2) | instid1(VALU_DEP_4)
	v_fma_f64 v[77:78], v[17:18], s[12:13], v[77:78]
	v_add_f64 v[17:18], v[81:82], v[98:99]
	v_fma_f64 v[75:76], v[79:80], s[12:13], v[75:76]
	v_fma_f64 v[79:80], v[79:80], s[12:13], v[102:103]
	v_add_f64 v[102:103], v[83:84], v[100:101]
	s_delay_alu instid0(VALU_DEP_4) | instskip(SKIP_2) | instid1(VALU_DEP_4)
	v_fma_f64 v[17:18], v[17:18], -0.5, v[69:70]
	v_add_f64 v[69:70], v[69:70], v[81:82]
	v_add_f64 v[81:82], v[85:86], -v[81:82]
	v_fma_f64 v[102:103], v[102:103], -0.5, v[71:72]
	v_add_f64 v[71:72], v[71:72], v[83:84]
	s_delay_alu instid0(VALU_DEP_4) | instskip(SKIP_2) | instid1(VALU_DEP_4)
	v_add_f64 v[69:70], v[69:70], v[85:86]
	v_add_f64 v[83:84], v[87:88], -v[83:84]
	v_add_f64 v[85:86], v[89:90], -v[98:99]
	v_add_f64 v[71:72], v[71:72], v[87:88]
	s_delay_alu instid0(VALU_DEP_4)
	v_add_f64 v[69:70], v[69:70], v[89:90]
	v_add_f64 v[87:88], v[91:92], -v[100:101]
	v_fma_f64 v[89:90], v[126:127], s[20:21], v[17:18]
	v_fma_f64 v[17:18], v[126:127], s[18:19], v[17:18]
	v_add_f64 v[85:86], v[81:82], v[85:86]
	v_add_f64 v[71:72], v[71:72], v[91:92]
	;; [unrolled: 1-line block ×3, first 2 shown]
	v_fma_f64 v[91:92], v[130:131], s[18:19], v[102:103]
	v_fma_f64 v[98:99], v[130:131], s[20:21], v[102:103]
	v_add_f64 v[87:88], v[83:84], v[87:88]
	v_fma_f64 v[81:82], v[104:105], s[14:15], v[89:90]
	v_fma_f64 v[17:18], v[104:105], s[16:17], v[17:18]
	v_add_f64 v[130:131], v[114:115], -v[120:121]
	v_add_f64 v[71:72], v[71:72], v[100:101]
	v_fma_f64 v[83:84], v[128:129], s[16:17], v[91:92]
	v_fma_f64 v[89:90], v[128:129], s[14:15], v[98:99]
	v_add_f64 v[91:92], v[124:125], -v[120:121]
	v_fma_f64 v[81:82], v[85:86], s[12:13], v[81:82]
	v_fma_f64 v[85:86], v[85:86], s[12:13], v[17:18]
	v_add_f64 v[17:18], v[106:107], -v[112:113]
	v_add_f64 v[98:99], v[112:113], v[116:117]
	v_add_f64 v[128:129], v[110:111], -v[124:125]
	v_fma_f64 v[83:84], v[87:88], s[12:13], v[83:84]
	v_fma_f64 v[87:88], v[87:88], s[12:13], v[89:90]
	v_add_f64 v[89:90], v[122:123], -v[116:117]
	s_delay_alu instid0(VALU_DEP_1) | instskip(SKIP_1) | instid1(VALU_DEP_1)
	v_add_f64 v[17:18], v[17:18], v[89:90]
	v_add_f64 v[89:90], v[110:111], -v[114:115]
	v_add_f64 v[104:105], v[89:90], v[91:92]
	ds_load_b128 v[89:92], v94 offset:8640
	s_waitcnt lgkmcnt(0)
	v_fma_f64 v[102:103], v[98:99], -0.5, v[89:90]
	v_add_f64 v[98:99], v[114:115], v[120:121]
	s_delay_alu instid0(VALU_DEP_1) | instskip(NEXT) | instid1(VALU_DEP_3)
	v_fma_f64 v[126:127], v[98:99], -0.5, v[91:92]
	v_fma_f64 v[98:99], v[128:129], s[18:19], v[102:103]
	v_fma_f64 v[102:103], v[128:129], s[20:21], v[102:103]
	s_delay_alu instid0(VALU_DEP_3) | instskip(SKIP_1) | instid1(VALU_DEP_4)
	v_fma_f64 v[100:101], v[148:149], s[20:21], v[126:127]
	v_fma_f64 v[126:127], v[148:149], s[18:19], v[126:127]
	v_fma_f64 v[98:99], v[130:131], s[14:15], v[98:99]
	s_delay_alu instid0(VALU_DEP_4) | instskip(NEXT) | instid1(VALU_DEP_4)
	v_fma_f64 v[102:103], v[130:131], s[16:17], v[102:103]
	v_fma_f64 v[100:101], v[150:151], s[16:17], v[100:101]
	s_delay_alu instid0(VALU_DEP_4) | instskip(NEXT) | instid1(VALU_DEP_4)
	v_fma_f64 v[126:127], v[150:151], s[14:15], v[126:127]
	v_fma_f64 v[98:99], v[17:18], s[12:13], v[98:99]
	s_delay_alu instid0(VALU_DEP_4) | instskip(SKIP_4) | instid1(VALU_DEP_4)
	v_fma_f64 v[102:103], v[17:18], s[12:13], v[102:103]
	v_add_f64 v[17:18], v[106:107], v[122:123]
	v_fma_f64 v[100:101], v[104:105], s[12:13], v[100:101]
	v_fma_f64 v[104:105], v[104:105], s[12:13], v[126:127]
	v_add_f64 v[126:127], v[110:111], v[124:125]
	v_fma_f64 v[17:18], v[17:18], -0.5, v[89:90]
	v_add_f64 v[89:90], v[89:90], v[106:107]
	v_add_f64 v[106:107], v[112:113], -v[106:107]
	s_delay_alu instid0(VALU_DEP_4) | instskip(SKIP_4) | instid1(VALU_DEP_4)
	v_fma_f64 v[126:127], v[126:127], -0.5, v[91:92]
	v_add_f64 v[91:92], v[91:92], v[110:111]
	v_add_f64 v[110:111], v[114:115], -v[110:111]
	v_add_f64 v[89:90], v[89:90], v[112:113]
	v_add_f64 v[112:113], v[116:117], -v[122:123]
	;; [unrolled: 2-line block ×3, first 2 shown]
	s_delay_alu instid0(VALU_DEP_4)
	v_add_f64 v[89:90], v[89:90], v[116:117]
	v_fma_f64 v[116:117], v[130:131], s[20:21], v[17:18]
	v_fma_f64 v[17:18], v[130:131], s[18:19], v[17:18]
	v_add_f64 v[106:107], v[106:107], v[112:113]
	v_add_f64 v[91:92], v[91:92], v[120:121]
	v_fma_f64 v[120:121], v[150:151], s[18:19], v[126:127]
	v_add_f64 v[89:90], v[89:90], v[122:123]
	v_fma_f64 v[122:123], v[150:151], s[20:21], v[126:127]
	v_fma_f64 v[17:18], v[128:129], s[16:17], v[17:18]
	v_add_f64 v[150:151], v[138:139], -v[142:143]
	v_add_f64 v[91:92], v[91:92], v[124:125]
	v_add_f64 v[124:125], v[110:111], v[114:115]
	v_fma_f64 v[110:111], v[128:129], s[14:15], v[116:117]
	v_fma_f64 v[112:113], v[148:149], s[16:17], v[120:121]
	v_fma_f64 v[114:115], v[106:107], s[12:13], v[17:18]
	v_add_f64 v[17:18], v[132:133], -v[136:137]
	v_fma_f64 v[116:117], v[148:149], s[14:15], v[122:123]
	v_add_f64 v[120:121], v[146:147], -v[142:143]
	v_add_f64 v[148:149], v[134:135], -v[146:147]
	v_fma_f64 v[110:111], v[106:107], s[12:13], v[110:111]
	v_add_f64 v[106:107], v[144:145], -v[140:141]
	v_fma_f64 v[112:113], v[124:125], s[12:13], v[112:113]
	v_fma_f64 v[116:117], v[124:125], s[12:13], v[116:117]
	v_add_f64 v[124:125], v[136:137], v[140:141]
	s_delay_alu instid0(VALU_DEP_4) | instskip(SKIP_1) | instid1(VALU_DEP_1)
	v_add_f64 v[17:18], v[17:18], v[106:107]
	v_add_f64 v[106:107], v[134:135], -v[138:139]
	v_add_f64 v[106:107], v[106:107], v[120:121]
	ds_load_b128 v[120:123], v94 offset:10800
	s_waitcnt lgkmcnt(0)
	s_waitcnt_vscnt null, 0x0
	s_barrier
	buffer_gl0_inv
	ds_store_b128 v1, v[4:7]
	ds_store_b128 v1, v[8:11] offset:160
	ds_store_b128 v1, v[21:24] offset:320
	;; [unrolled: 1-line block ×4, first 2 shown]
	v_mad_u16 v1, v3, 50, v19
	v_lshrrev_b16 v19, 11, v0
	s_delay_alu instid0(VALU_DEP_2) | instskip(NEXT) | instid1(VALU_DEP_2)
	v_and_b32_e32 v1, 0xffff, v1
	v_mul_lo_u16 v0, v19, 50
	s_delay_alu instid0(VALU_DEP_2) | instskip(NEXT) | instid1(VALU_DEP_2)
	v_lshlrev_b32_e32 v1, 4, v1
	v_sub_nc_u16 v0, v119, v0
	v_fma_f64 v[128:129], v[124:125], -0.5, v[120:121]
	v_add_f64 v[124:125], v[138:139], v[142:143]
	scratch_store_b32 off, v1, off offset:900 ; 4-byte Folded Spill
	ds_store_b128 v1, v[29:32]
	ds_store_b128 v1, v[33:36] offset:160
	ds_store_b128 v1, v[41:44] offset:320
	;; [unrolled: 1-line block ×4, first 2 shown]
	v_mad_u16 v1, v156, 50, v157
	s_delay_alu instid0(VALU_DEP_1) | instskip(NEXT) | instid1(VALU_DEP_1)
	v_and_b32_e32 v1, 0xffff, v1
	v_lshlrev_b32_e32 v1, 4, v1
	scratch_store_b32 off, v1, off offset:896 ; 4-byte Folded Spill
	ds_store_b128 v1, v[49:52]
	ds_store_b128 v1, v[53:56] offset:160
	ds_store_b128 v1, v[61:64] offset:320
	;; [unrolled: 1-line block ×4, first 2 shown]
	v_mad_u16 v1, v158, 50, v159
	s_delay_alu instid0(VALU_DEP_1) | instskip(NEXT) | instid1(VALU_DEP_1)
	v_and_b32_e32 v1, 0xffff, v1
	v_lshlrev_b32_e32 v1, 4, v1
	scratch_store_b32 off, v1, off offset:892 ; 4-byte Folded Spill
	ds_store_b128 v1, v[69:72]
	ds_store_b128 v1, v[73:76] offset:160
	ds_store_b128 v1, v[81:84] offset:320
	;; [unrolled: 1-line block ×4, first 2 shown]
	v_mad_u16 v1, v160, 50, v161
	v_fma_f64 v[130:131], v[124:125], -0.5, v[122:123]
	v_fma_f64 v[124:125], v[148:149], s[18:19], v[128:129]
	v_fma_f64 v[128:129], v[148:149], s[20:21], v[128:129]
	s_delay_alu instid0(VALU_DEP_4) | instskip(NEXT) | instid1(VALU_DEP_1)
	v_and_b32_e32 v1, 0xffff, v1
	v_lshlrev_b32_e32 v1, 4, v1
	scratch_store_b32 off, v1, off offset:888 ; 4-byte Folded Spill
	ds_store_b128 v1, v[89:92]
	ds_store_b128 v1, v[98:101] offset:160
	ds_store_b128 v1, v[110:113] offset:320
	;; [unrolled: 1-line block ×4, first 2 shown]
	v_mad_u16 v1, v162, 50, v163
	v_add_co_u32 v101, null, 0x32a, v167
	v_add_co_u32 v100, null, 0x3b1, v167
	s_delay_alu instid0(VALU_DEP_3) | instskip(SKIP_2) | instid1(VALU_DEP_3)
	v_and_b32_e32 v1, 0xffff, v1
	v_add_co_u32 v99, null, 0x438, v167
	v_add_co_u32 v98, null, 0x4bf, v167
	v_lshlrev_b32_e32 v1, 4, v1
	scratch_store_b32 off, v1, off offset:884 ; 4-byte Folded Spill
	v_fma_f64 v[126:127], v[152:153], s[20:21], v[130:131]
	v_fma_f64 v[130:131], v[152:153], s[18:19], v[130:131]
	;; [unrolled: 1-line block ×4, first 2 shown]
	s_delay_alu instid0(VALU_DEP_4) | instskip(NEXT) | instid1(VALU_DEP_4)
	v_fma_f64 v[126:127], v[154:155], s[16:17], v[126:127]
	v_fma_f64 v[130:131], v[154:155], s[14:15], v[130:131]
	s_delay_alu instid0(VALU_DEP_4) | instskip(NEXT) | instid1(VALU_DEP_4)
	v_fma_f64 v[124:125], v[17:18], s[12:13], v[124:125]
	v_fma_f64 v[128:129], v[17:18], s[12:13], v[128:129]
	v_add_f64 v[17:18], v[132:133], v[144:145]
	v_fma_f64 v[126:127], v[106:107], s[12:13], v[126:127]
	v_fma_f64 v[130:131], v[106:107], s[12:13], v[130:131]
	v_add_f64 v[106:107], v[134:135], v[146:147]
	s_delay_alu instid0(VALU_DEP_4) | instskip(SKIP_2) | instid1(VALU_DEP_4)
	v_fma_f64 v[17:18], v[17:18], -0.5, v[120:121]
	v_add_f64 v[120:121], v[120:121], v[132:133]
	v_add_f64 v[132:133], v[136:137], -v[132:133]
	v_fma_f64 v[106:107], v[106:107], -0.5, v[122:123]
	v_add_f64 v[122:123], v[122:123], v[134:135]
	v_add_f64 v[134:135], v[138:139], -v[134:135]
	v_add_f64 v[120:121], v[120:121], v[136:137]
	v_add_f64 v[136:137], v[140:141], -v[144:145]
	s_delay_alu instid0(VALU_DEP_4) | instskip(SKIP_1) | instid1(VALU_DEP_4)
	v_add_f64 v[122:123], v[122:123], v[138:139]
	v_add_f64 v[138:139], v[142:143], -v[146:147]
	v_add_f64 v[120:121], v[120:121], v[140:141]
	v_fma_f64 v[140:141], v[150:151], s[20:21], v[17:18]
	v_fma_f64 v[17:18], v[150:151], s[18:19], v[17:18]
	v_add_f64 v[136:137], v[132:133], v[136:137]
	v_add_f64 v[122:123], v[122:123], v[142:143]
	v_fma_f64 v[142:143], v[154:155], s[18:19], v[106:107]
	v_fma_f64 v[106:107], v[154:155], s[20:21], v[106:107]
	v_add_f64 v[138:139], v[134:135], v[138:139]
	v_fma_f64 v[132:133], v[148:149], s[14:15], v[140:141]
	v_fma_f64 v[17:18], v[148:149], s[16:17], v[17:18]
	v_add_f64 v[120:121], v[120:121], v[144:145]
	v_and_b32_e32 v148, 0xff, v0
	s_delay_alu instid0(VALU_DEP_1)
	v_lshlrev_b32_e32 v8, 5, v148
	v_add_f64 v[122:123], v[122:123], v[146:147]
	v_fma_f64 v[134:135], v[152:153], s[16:17], v[142:143]
	v_fma_f64 v[106:107], v[152:153], s[14:15], v[106:107]
	;; [unrolled: 1-line block ×4, first 2 shown]
	s_delay_alu instid0(VALU_DEP_4) | instskip(NEXT) | instid1(VALU_DEP_4)
	v_fma_f64 v[134:135], v[138:139], s[12:13], v[134:135]
	v_fma_f64 v[138:139], v[138:139], s[12:13], v[106:107]
	ds_store_b128 v1, v[120:123]
	ds_store_b128 v1, v[124:127] offset:160
	ds_store_b128 v1, v[132:135] offset:320
	;; [unrolled: 1-line block ×4, first 2 shown]
	s_waitcnt lgkmcnt(0)
	s_waitcnt_vscnt null, 0x0
	s_barrier
	buffer_gl0_inv
	global_load_b128 v[9:12], v8, s[10:11] offset:640
	ds_load_b128 v[0:3], v94 offset:21600
	ds_load_b128 v[136:139], v94 offset:19440
	s_waitcnt vmcnt(0) lgkmcnt(1)
	v_mul_f64 v[4:5], v[2:3], v[11:12]
	scratch_store_b128 off, v[9:12], off offset:852 ; 16-byte Folded Spill
	v_fma_f64 v[4:5], v[0:1], v[9:10], -v[4:5]
	v_mul_f64 v[0:1], v[0:1], v[11:12]
	s_delay_alu instid0(VALU_DEP_1)
	v_fma_f64 v[6:7], v[2:3], v[9:10], v[0:1]
	global_load_b128 v[10:13], v8, s[10:11] offset:656
	ds_load_b128 v[0:3], v94 offset:43200
	s_waitcnt vmcnt(0) lgkmcnt(0)
	v_mul_f64 v[8:9], v[2:3], v[12:13]
	scratch_store_b128 off, v[10:13], off offset:868 ; 16-byte Folded Spill
	v_fma_f64 v[17:18], v[0:1], v[10:11], -v[8:9]
	v_mul_f64 v[0:1], v[0:1], v[12:13]
	s_delay_alu instid0(VALU_DEP_1) | instskip(SKIP_1) | instid1(VALU_DEP_1)
	v_fma_f64 v[21:22], v[2:3], v[10:11], v[0:1]
	v_lshrrev_b16 v0, 1, v16
	v_and_b32_e32 v0, 0xffff, v0
	s_delay_alu instid0(VALU_DEP_1) | instskip(NEXT) | instid1(VALU_DEP_1)
	v_mul_u32_u24_e32 v0, 0x147b, v0
	v_lshrrev_b32_e32 v149, 17, v0
	s_delay_alu instid0(VALU_DEP_1) | instskip(NEXT) | instid1(VALU_DEP_1)
	v_mul_lo_u16 v0, v149, 50
	v_sub_nc_u16 v150, v16, v0
	s_delay_alu instid0(VALU_DEP_1) | instskip(NEXT) | instid1(VALU_DEP_1)
	v_lshlrev_b16 v0, 5, v150
	v_and_b32_e32 v0, 0xffff, v0
	s_delay_alu instid0(VALU_DEP_1) | instskip(NEXT) | instid1(VALU_DEP_1)
	v_add_co_u32 v8, s2, s10, v0
	v_add_co_ci_u32_e64 v9, null, s11, 0, s2
	ds_load_b128 v[0:3], v94 offset:23760
	global_load_b128 v[12:15], v[8:9], off offset:640
	s_waitcnt vmcnt(0) lgkmcnt(0)
	v_mul_f64 v[10:11], v[2:3], v[14:15]
	scratch_store_b128 off, v[12:15], off offset:836 ; 16-byte Folded Spill
	v_fma_f64 v[29:30], v[0:1], v[12:13], -v[10:11]
	v_mul_f64 v[0:1], v[0:1], v[14:15]
	s_delay_alu instid0(VALU_DEP_1)
	v_fma_f64 v[31:32], v[2:3], v[12:13], v[0:1]
	global_load_b128 v[10:13], v[8:9], off offset:656
	ds_load_b128 v[0:3], v94 offset:45360
	s_waitcnt vmcnt(0) lgkmcnt(0)
	v_mul_f64 v[8:9], v[2:3], v[12:13]
	scratch_store_b128 off, v[10:13], off offset:676 ; 16-byte Folded Spill
	v_fma_f64 v[33:34], v[0:1], v[10:11], -v[8:9]
	v_mul_f64 v[0:1], v[0:1], v[12:13]
	s_delay_alu instid0(VALU_DEP_1) | instskip(SKIP_1) | instid1(VALU_DEP_1)
	v_fma_f64 v[35:36], v[2:3], v[10:11], v[0:1]
	v_lshrrev_b16 v0, 1, v20
	v_and_b32_e32 v8, 0xffff, v0
	s_delay_alu instid0(VALU_DEP_1) | instskip(SKIP_1) | instid1(VALU_DEP_2)
	v_mul_u32_u24_e32 v0, 0x147b, v8
	v_mul_u32_u24_e32 v8, 0xda75, v8
	v_lshrrev_b32_e32 v151, 17, v0
	s_delay_alu instid0(VALU_DEP_1) | instskip(NEXT) | instid1(VALU_DEP_1)
	v_mul_lo_u16 v0, v151, 50
	v_sub_nc_u16 v152, v20, v0
	s_delay_alu instid0(VALU_DEP_1) | instskip(NEXT) | instid1(VALU_DEP_1)
	v_lshlrev_b16 v0, 5, v152
	v_and_b32_e32 v0, 0xffff, v0
	s_delay_alu instid0(VALU_DEP_1) | instskip(NEXT) | instid1(VALU_DEP_1)
	v_add_co_u32 v9, s2, s10, v0
	v_add_co_ci_u32_e64 v10, null, s11, 0, s2
	ds_load_b128 v[0:3], v94 offset:25920
	global_load_b128 v[23:26], v[9:10], off offset:640
	s_waitcnt vmcnt(0) lgkmcnt(0)
	v_mul_f64 v[11:12], v[2:3], v[25:26]
	s_delay_alu instid0(VALU_DEP_1)
	v_fma_f64 v[41:42], v[0:1], v[23:24], -v[11:12]
	global_load_b128 v[11:14], v[9:10], off offset:656
	v_mul_f64 v[0:1], v[0:1], v[25:26]
	scratch_store_b128 off, v[23:26], off offset:804 ; 16-byte Folded Spill
	v_fma_f64 v[43:44], v[2:3], v[23:24], v[0:1]
	ds_load_b128 v[0:3], v94 offset:47520
	s_waitcnt vmcnt(0)
	scratch_store_b128 off, v[11:14], off offset:820 ; 16-byte Folded Spill
	s_waitcnt lgkmcnt(0)
	v_mul_f64 v[9:10], v[2:3], v[13:14]
	s_delay_alu instid0(VALU_DEP_1) | instskip(SKIP_1) | instid1(VALU_DEP_1)
	v_fma_f64 v[45:46], v[0:1], v[11:12], -v[9:10]
	v_mul_f64 v[0:1], v[0:1], v[13:14]
	v_fma_f64 v[47:48], v[2:3], v[11:12], v[0:1]
	v_lshrrev_b16 v0, 1, v97
	s_delay_alu instid0(VALU_DEP_1) | instskip(NEXT) | instid1(VALU_DEP_1)
	v_and_b32_e32 v9, 0xffff, v0
	v_mul_u32_u24_e32 v0, 0x147b, v9
	s_delay_alu instid0(VALU_DEP_1) | instskip(NEXT) | instid1(VALU_DEP_1)
	v_lshrrev_b32_e32 v153, 17, v0
	v_mul_lo_u16 v0, v153, 50
	s_delay_alu instid0(VALU_DEP_1) | instskip(NEXT) | instid1(VALU_DEP_1)
	v_sub_nc_u16 v154, v97, v0
	v_lshlrev_b16 v0, 5, v154
	s_delay_alu instid0(VALU_DEP_1) | instskip(SKIP_1) | instid1(VALU_DEP_2)
	v_and_b32_e32 v0, 0xffff, v0
	v_add_f64 v[49:50], v[43:44], v[47:48]
	v_add_co_u32 v10, s2, s10, v0
	s_delay_alu instid0(VALU_DEP_1) | instskip(SKIP_4) | instid1(VALU_DEP_1)
	v_add_co_ci_u32_e64 v11, null, s11, 0, s2
	ds_load_b128 v[0:3], v94 offset:28080
	global_load_b128 v[23:26], v[10:11], off offset:640
	s_waitcnt vmcnt(0) lgkmcnt(0)
	v_mul_f64 v[12:13], v[2:3], v[25:26]
	v_fma_f64 v[53:54], v[0:1], v[23:24], -v[12:13]
	global_load_b128 v[12:15], v[10:11], off offset:656
	v_mul_f64 v[0:1], v[0:1], v[25:26]
	scratch_store_b128 off, v[23:26], off offset:788 ; 16-byte Folded Spill
	v_fma_f64 v[55:56], v[2:3], v[23:24], v[0:1]
	ds_load_b128 v[0:3], v94 offset:49680
	s_waitcnt vmcnt(0)
	scratch_store_b128 off, v[12:15], off offset:612 ; 16-byte Folded Spill
	s_waitcnt lgkmcnt(0)
	v_mul_f64 v[10:11], v[2:3], v[14:15]
	s_delay_alu instid0(VALU_DEP_1) | instskip(SKIP_1) | instid1(VALU_DEP_1)
	v_fma_f64 v[57:58], v[0:1], v[12:13], -v[10:11]
	v_mul_f64 v[0:1], v[0:1], v[14:15]
	v_fma_f64 v[59:60], v[2:3], v[12:13], v[0:1]
	v_lshrrev_b16 v0, 1, v96
	s_delay_alu instid0(VALU_DEP_1) | instskip(NEXT) | instid1(VALU_DEP_1)
	v_and_b32_e32 v10, 0xffff, v0
	v_mul_u32_u24_e32 v0, 0x147b, v10
	s_delay_alu instid0(VALU_DEP_1) | instskip(NEXT) | instid1(VALU_DEP_1)
	v_lshrrev_b32_e32 v155, 17, v0
	v_mul_lo_u16 v0, v155, 50
	s_delay_alu instid0(VALU_DEP_1) | instskip(NEXT) | instid1(VALU_DEP_1)
	v_sub_nc_u16 v156, v96, v0
	v_lshlrev_b16 v0, 5, v156
	s_delay_alu instid0(VALU_DEP_1) | instskip(SKIP_1) | instid1(VALU_DEP_2)
	v_and_b32_e32 v0, 0xffff, v0
	v_add_f64 v[61:62], v[55:56], v[59:60]
	v_add_co_u32 v11, s2, s10, v0
	s_delay_alu instid0(VALU_DEP_1)
	v_add_co_ci_u32_e64 v12, null, s11, 0, s2
	ds_load_b128 v[0:3], v94 offset:30240
	global_load_b128 v[23:26], v[11:12], off offset:640
	s_waitcnt vmcnt(0) lgkmcnt(0)
	v_mul_f64 v[13:14], v[2:3], v[25:26]
	scratch_store_b128 off, v[23:26], off offset:756 ; 16-byte Folded Spill
	v_fma_f64 v[65:66], v[0:1], v[23:24], -v[13:14]
	v_mul_f64 v[0:1], v[0:1], v[25:26]
	s_delay_alu instid0(VALU_DEP_1)
	v_fma_f64 v[67:68], v[2:3], v[23:24], v[0:1]
	global_load_b128 v[23:26], v[11:12], off offset:656
	ds_load_b128 v[0:3], v94 offset:51840
	s_waitcnt vmcnt(0) lgkmcnt(0)
	v_mul_f64 v[11:12], v[2:3], v[25:26]
	scratch_store_b128 off, v[23:26], off offset:772 ; 16-byte Folded Spill
	v_fma_f64 v[69:70], v[0:1], v[23:24], -v[11:12]
	v_mul_f64 v[0:1], v[0:1], v[25:26]
	s_delay_alu instid0(VALU_DEP_1) | instskip(SKIP_1) | instid1(VALU_DEP_1)
	v_fma_f64 v[71:72], v[2:3], v[23:24], v[0:1]
	v_lshrrev_b16 v0, 1, v93
	v_and_b32_e32 v11, 0xffff, v0
	s_delay_alu instid0(VALU_DEP_1) | instskip(NEXT) | instid1(VALU_DEP_1)
	v_mul_u32_u24_e32 v0, 0x147b, v11
	v_lshrrev_b32_e32 v157, 17, v0
	s_delay_alu instid0(VALU_DEP_1) | instskip(NEXT) | instid1(VALU_DEP_1)
	v_mul_lo_u16 v0, v157, 50
	v_sub_nc_u16 v158, v93, v0
	s_delay_alu instid0(VALU_DEP_1) | instskip(NEXT) | instid1(VALU_DEP_1)
	v_lshlrev_b16 v0, 5, v158
	v_and_b32_e32 v0, 0xffff, v0
	v_add_f64 v[73:74], v[67:68], v[71:72]
	s_delay_alu instid0(VALU_DEP_2) | instskip(NEXT) | instid1(VALU_DEP_1)
	v_add_co_u32 v12, s2, s10, v0
	v_add_co_ci_u32_e64 v13, null, s11, 0, s2
	ds_load_b128 v[0:3], v94 offset:32400
	global_load_b128 v[23:26], v[12:13], off offset:640
	s_waitcnt vmcnt(0) lgkmcnt(0)
	v_mul_f64 v[14:15], v[2:3], v[25:26]
	scratch_store_b128 off, v[23:26], off offset:740 ; 16-byte Folded Spill
	v_fma_f64 v[77:78], v[0:1], v[23:24], -v[14:15]
	v_mul_f64 v[0:1], v[0:1], v[25:26]
	s_delay_alu instid0(VALU_DEP_1)
	v_fma_f64 v[79:80], v[2:3], v[23:24], v[0:1]
	global_load_b128 v[23:26], v[12:13], off offset:656
	ds_load_b128 v[0:3], v94 offset:54000
	s_waitcnt vmcnt(0) lgkmcnt(0)
	v_mul_f64 v[12:13], v[2:3], v[25:26]
	scratch_store_b128 off, v[23:26], off offset:596 ; 16-byte Folded Spill
	v_fma_f64 v[81:82], v[0:1], v[23:24], -v[12:13]
	v_mul_f64 v[0:1], v[0:1], v[25:26]
	s_delay_alu instid0(VALU_DEP_1) | instskip(SKIP_1) | instid1(VALU_DEP_1)
	v_fma_f64 v[83:84], v[2:3], v[23:24], v[0:1]
	v_lshrrev_b16 v0, 1, v101
	v_and_b32_e32 v12, 0xffff, v0
	s_delay_alu instid0(VALU_DEP_1) | instskip(NEXT) | instid1(VALU_DEP_1)
	v_mul_u32_u24_e32 v0, 0x147b, v12
	v_lshrrev_b32_e32 v159, 17, v0
	s_delay_alu instid0(VALU_DEP_1) | instskip(NEXT) | instid1(VALU_DEP_1)
	v_mul_lo_u16 v0, v159, 50
	v_sub_nc_u16 v160, v101, v0
	s_delay_alu instid0(VALU_DEP_1) | instskip(NEXT) | instid1(VALU_DEP_1)
	v_lshlrev_b16 v0, 5, v160
	v_and_b32_e32 v0, 0xffff, v0
	v_add_f64 v[85:86], v[79:80], v[83:84]
	s_delay_alu instid0(VALU_DEP_2) | instskip(NEXT) | instid1(VALU_DEP_1)
	v_add_co_u32 v13, s2, s10, v0
	;; [unrolled: 33-line block ×3, first 2 shown]
	v_add_co_ci_u32_e64 v15, null, s11, 0, s2
	ds_load_b128 v[0:3], v94 offset:36720
	global_load_b128 v[25:28], v[14:15], off offset:640
	s_waitcnt vmcnt(0) lgkmcnt(0)
	v_mul_f64 v[23:24], v[2:3], v[27:28]
	scratch_store_b128 off, v[25:28], off offset:708 ; 16-byte Folded Spill
	v_fma_f64 v[106:107], v[0:1], v[25:26], -v[23:24]
	v_mul_f64 v[0:1], v[0:1], v[27:28]
	s_delay_alu instid0(VALU_DEP_1)
	v_fma_f64 v[114:115], v[2:3], v[25:26], v[0:1]
	global_load_b128 v[23:26], v[14:15], off offset:656
	ds_load_b128 v[0:3], v94 offset:58320
	s_waitcnt vmcnt(0) lgkmcnt(0)
	v_mul_f64 v[14:15], v[2:3], v[25:26]
	scratch_store_b128 off, v[23:26], off offset:580 ; 16-byte Folded Spill
	v_fma_f64 v[116:117], v[0:1], v[23:24], -v[14:15]
	v_mul_f64 v[0:1], v[0:1], v[25:26]
	s_delay_alu instid0(VALU_DEP_1) | instskip(SKIP_1) | instid1(VALU_DEP_1)
	v_fma_f64 v[120:121], v[2:3], v[23:24], v[0:1]
	v_lshrrev_b16 v0, 1, v99
	v_and_b32_e32 v14, 0xffff, v0
	s_delay_alu instid0(VALU_DEP_1) | instskip(NEXT) | instid1(VALU_DEP_1)
	v_mul_u32_u24_e32 v0, 0x147b, v14
	v_lshrrev_b32_e32 v163, 17, v0
	s_delay_alu instid0(VALU_DEP_1) | instskip(NEXT) | instid1(VALU_DEP_1)
	v_mul_lo_u16 v0, v163, 50
	v_sub_nc_u16 v164, v99, v0
	s_delay_alu instid0(VALU_DEP_1) | instskip(NEXT) | instid1(VALU_DEP_1)
	v_lshlrev_b16 v0, 5, v164
	v_and_b32_e32 v0, 0xffff, v0
	v_add_f64 v[122:123], v[114:115], v[120:121]
	v_add_f64 v[124:125], v[114:115], -v[120:121]
	s_delay_alu instid0(VALU_DEP_3) | instskip(NEXT) | instid1(VALU_DEP_1)
	v_add_co_u32 v23, s2, s10, v0
	v_add_co_ci_u32_e64 v24, null, s11, 0, s2
	ds_load_b128 v[0:3], v94 offset:38880
	global_load_b128 v[37:40], v[23:24], off offset:640
	s_waitcnt vmcnt(0) lgkmcnt(0)
	v_mul_f64 v[25:26], v[2:3], v[39:40]
	s_delay_alu instid0(VALU_DEP_1)
	v_fma_f64 v[128:129], v[0:1], v[37:38], -v[25:26]
	global_load_b128 v[25:28], v[23:24], off offset:656
	v_mul_f64 v[0:1], v[0:1], v[39:40]
	scratch_store_b128 off, v[37:40], off offset:628 ; 16-byte Folded Spill
	v_fma_f64 v[130:131], v[2:3], v[37:38], v[0:1]
	ds_load_b128 v[0:3], v94 offset:60480
	s_waitcnt vmcnt(0)
	scratch_store_b128 off, v[25:28], off offset:660 ; 16-byte Folded Spill
	s_waitcnt lgkmcnt(0)
	v_mul_f64 v[23:24], v[2:3], v[27:28]
	s_delay_alu instid0(VALU_DEP_1) | instskip(SKIP_1) | instid1(VALU_DEP_1)
	v_fma_f64 v[132:133], v[0:1], v[25:26], -v[23:24]
	v_mul_f64 v[0:1], v[0:1], v[27:28]
	v_fma_f64 v[134:135], v[2:3], v[25:26], v[0:1]
	v_lshrrev_b16 v0, 1, v98
	s_delay_alu instid0(VALU_DEP_1) | instskip(NEXT) | instid1(VALU_DEP_1)
	v_and_b32_e32 v15, 0xffff, v0
	v_mul_u32_u24_e32 v0, 0x147b, v15
	s_delay_alu instid0(VALU_DEP_1) | instskip(NEXT) | instid1(VALU_DEP_1)
	v_lshrrev_b32_e32 v165, 17, v0
	v_mul_lo_u16 v0, v165, 50
	s_delay_alu instid0(VALU_DEP_1) | instskip(NEXT) | instid1(VALU_DEP_1)
	v_sub_nc_u16 v166, v98, v0
	v_lshlrev_b16 v0, 5, v166
	s_delay_alu instid0(VALU_DEP_1) | instskip(NEXT) | instid1(VALU_DEP_1)
	v_and_b32_e32 v0, 0xffff, v0
	v_add_co_u32 v23, s2, s10, v0
	s_delay_alu instid0(VALU_DEP_1)
	v_add_co_ci_u32_e64 v24, null, s11, 0, s2
	ds_load_b128 v[0:3], v94 offset:41040
	s_mov_b32 s2, s8
	global_load_b128 v[37:40], v[23:24], off offset:640
	s_waitcnt vmcnt(0) lgkmcnt(0)
	v_mul_f64 v[25:26], v[2:3], v[39:40]
	s_delay_alu instid0(VALU_DEP_1)
	v_fma_f64 v[140:141], v[0:1], v[37:38], -v[25:26]
	global_load_b128 v[25:28], v[23:24], off offset:656
	v_mul_f64 v[0:1], v[0:1], v[39:40]
	scratch_store_b128 off, v[37:40], off offset:644 ; 16-byte Folded Spill
	v_fma_f64 v[142:143], v[2:3], v[37:38], v[0:1]
	ds_load_b128 v[0:3], v94 offset:62640
	v_add_f64 v[37:38], v[31:32], v[35:36]
	s_waitcnt vmcnt(0)
	scratch_store_b128 off, v[25:28], off offset:564 ; 16-byte Folded Spill
	s_waitcnt lgkmcnt(0)
	v_mul_f64 v[23:24], v[2:3], v[27:28]
	s_delay_alu instid0(VALU_DEP_1) | instskip(SKIP_2) | instid1(VALU_DEP_2)
	v_fma_f64 v[144:145], v[0:1], v[25:26], -v[23:24]
	v_mul_f64 v[0:1], v[0:1], v[27:28]
	v_add_f64 v[23:24], v[4:5], v[17:18]
	v_fma_f64 v[146:147], v[2:3], v[25:26], v[0:1]
	ds_load_b128 v[0:3], v94
	v_add_f64 v[25:26], v[6:7], v[21:22]
	s_waitcnt lgkmcnt(0)
	v_fma_f64 v[23:24], v[23:24], -0.5, v[0:1]
	v_add_f64 v[0:1], v[0:1], v[4:5]
	s_delay_alu instid0(VALU_DEP_3) | instskip(SKIP_2) | instid1(VALU_DEP_4)
	v_fma_f64 v[25:26], v[25:26], -0.5, v[2:3]
	v_add_f64 v[2:3], v[2:3], v[6:7]
	v_add_f64 v[6:7], v[6:7], -v[21:22]
	v_add_f64 v[0:1], v[0:1], v[17:18]
	v_add_f64 v[17:18], v[4:5], -v[17:18]
	s_delay_alu instid0(VALU_DEP_4) | instskip(NEXT) | instid1(VALU_DEP_4)
	v_add_f64 v[2:3], v[2:3], v[21:22]
	v_fma_f64 v[4:5], v[6:7], s[8:9], v[23:24]
	v_fma_f64 v[21:22], v[6:7], s[2:3], v[23:24]
	s_delay_alu instid0(VALU_DEP_4)
	v_fma_f64 v[6:7], v[17:18], s[2:3], v[25:26]
	v_fma_f64 v[23:24], v[17:18], s[8:9], v[25:26]
	ds_load_b128 v[25:28], v94 offset:2160
	v_add_f64 v[17:18], v[29:30], v[33:34]
	s_waitcnt lgkmcnt(0)
	v_fma_f64 v[37:38], v[37:38], -0.5, v[27:28]
	v_add_f64 v[27:28], v[27:28], v[31:32]
	v_add_f64 v[31:32], v[31:32], -v[35:36]
	s_delay_alu instid0(VALU_DEP_4) | instskip(SKIP_1) | instid1(VALU_DEP_4)
	v_fma_f64 v[17:18], v[17:18], -0.5, v[25:26]
	v_add_f64 v[25:26], v[25:26], v[29:30]
	v_add_f64 v[27:28], v[27:28], v[35:36]
	v_add_f64 v[35:36], v[29:30], -v[33:34]
	s_delay_alu instid0(VALU_DEP_4) | instskip(NEXT) | instid1(VALU_DEP_4)
	v_fma_f64 v[29:30], v[31:32], s[8:9], v[17:18]
	v_add_f64 v[25:26], v[25:26], v[33:34]
	v_fma_f64 v[33:34], v[31:32], s[2:3], v[17:18]
	v_add_f64 v[17:18], v[41:42], v[45:46]
	v_fma_f64 v[31:32], v[35:36], s[2:3], v[37:38]
	v_fma_f64 v[35:36], v[35:36], s[8:9], v[37:38]
	ds_load_b128 v[37:40], v94 offset:4320
	s_waitcnt lgkmcnt(0)
	v_fma_f64 v[49:50], v[49:50], -0.5, v[39:40]
	v_add_f64 v[39:40], v[39:40], v[43:44]
	v_fma_f64 v[17:18], v[17:18], -0.5, v[37:38]
	v_add_f64 v[37:38], v[37:38], v[41:42]
	v_add_f64 v[43:44], v[43:44], -v[47:48]
	s_delay_alu instid0(VALU_DEP_4) | instskip(SKIP_1) | instid1(VALU_DEP_4)
	v_add_f64 v[39:40], v[39:40], v[47:48]
	v_add_f64 v[47:48], v[41:42], -v[45:46]
	v_add_f64 v[37:38], v[37:38], v[45:46]
	s_delay_alu instid0(VALU_DEP_4)
	v_fma_f64 v[41:42], v[43:44], s[8:9], v[17:18]
	v_fma_f64 v[45:46], v[43:44], s[2:3], v[17:18]
	v_add_f64 v[17:18], v[53:54], v[57:58]
	v_fma_f64 v[43:44], v[47:48], s[2:3], v[49:50]
	v_fma_f64 v[47:48], v[47:48], s[8:9], v[49:50]
	ds_load_b128 v[49:52], v94 offset:6480
	s_waitcnt lgkmcnt(0)
	v_fma_f64 v[61:62], v[61:62], -0.5, v[51:52]
	v_add_f64 v[51:52], v[51:52], v[55:56]
	v_fma_f64 v[17:18], v[17:18], -0.5, v[49:50]
	v_add_f64 v[49:50], v[49:50], v[53:54]
	v_add_f64 v[55:56], v[55:56], -v[59:60]
	s_delay_alu instid0(VALU_DEP_4) | instskip(SKIP_1) | instid1(VALU_DEP_4)
	v_add_f64 v[51:52], v[51:52], v[59:60]
	v_add_f64 v[59:60], v[53:54], -v[57:58]
	v_add_f64 v[49:50], v[49:50], v[57:58]
	s_delay_alu instid0(VALU_DEP_4)
	v_fma_f64 v[53:54], v[55:56], s[8:9], v[17:18]
	;; [unrolled: 17-line block ×5, first 2 shown]
	v_fma_f64 v[102:103], v[91:92], s[2:3], v[17:18]
	v_add_f64 v[17:18], v[106:107], v[116:117]
	v_fma_f64 v[91:92], v[104:105], s[2:3], v[110:111]
	v_fma_f64 v[104:105], v[104:105], s[8:9], v[110:111]
	ds_load_b128 v[110:113], v94 offset:15120
	s_waitcnt lgkmcnt(0)
	v_fma_f64 v[17:18], v[17:18], -0.5, v[110:111]
	v_fma_f64 v[122:123], v[122:123], -0.5, v[112:113]
	v_add_f64 v[110:111], v[110:111], v[106:107]
	v_add_f64 v[106:107], v[106:107], -v[116:117]
	v_add_f64 v[112:113], v[112:113], v[114:115]
	v_fma_f64 v[114:115], v[124:125], s[8:9], v[17:18]
	s_delay_alu instid0(VALU_DEP_4) | instskip(NEXT) | instid1(VALU_DEP_4)
	v_add_f64 v[110:111], v[110:111], v[116:117]
	v_fma_f64 v[116:117], v[106:107], s[2:3], v[122:123]
	v_fma_f64 v[122:123], v[106:107], s[8:9], v[122:123]
	v_add_f64 v[106:107], v[130:131], v[134:135]
	v_add_f64 v[112:113], v[112:113], v[120:121]
	v_fma_f64 v[120:121], v[124:125], s[2:3], v[17:18]
	ds_load_b128 v[124:127], v94 offset:17280
	v_add_f64 v[17:18], v[128:129], v[132:133]
	s_waitcnt lgkmcnt(0)
	v_fma_f64 v[106:107], v[106:107], -0.5, v[126:127]
	v_add_f64 v[126:127], v[126:127], v[130:131]
	v_add_f64 v[130:131], v[130:131], -v[134:135]
	s_delay_alu instid0(VALU_DEP_4) | instskip(SKIP_1) | instid1(VALU_DEP_4)
	v_fma_f64 v[17:18], v[17:18], -0.5, v[124:125]
	v_add_f64 v[124:125], v[124:125], v[128:129]
	v_add_f64 v[126:127], v[126:127], v[134:135]
	v_add_f64 v[134:135], v[128:129], -v[132:133]
	s_delay_alu instid0(VALU_DEP_4) | instskip(NEXT) | instid1(VALU_DEP_4)
	v_fma_f64 v[128:129], v[130:131], s[8:9], v[17:18]
	v_add_f64 v[124:125], v[124:125], v[132:133]
	v_fma_f64 v[132:133], v[130:131], s[2:3], v[17:18]
	v_add_f64 v[17:18], v[140:141], v[144:145]
	v_fma_f64 v[130:131], v[134:135], s[2:3], v[106:107]
	v_fma_f64 v[134:135], v[134:135], s[8:9], v[106:107]
	v_add_f64 v[106:107], v[142:143], v[146:147]
	s_delay_alu instid0(VALU_DEP_4) | instskip(SKIP_1) | instid1(VALU_DEP_3)
	v_fma_f64 v[17:18], v[17:18], -0.5, v[136:137]
	v_add_f64 v[136:137], v[136:137], v[140:141]
	v_fma_f64 v[106:107], v[106:107], -0.5, v[138:139]
	v_add_f64 v[138:139], v[138:139], v[142:143]
	v_add_f64 v[142:143], v[142:143], -v[146:147]
	s_delay_alu instid0(VALU_DEP_4) | instskip(NEXT) | instid1(VALU_DEP_3)
	v_add_f64 v[136:137], v[136:137], v[144:145]
	v_add_f64 v[138:139], v[138:139], v[146:147]
	v_add_f64 v[146:147], v[140:141], -v[144:145]
	s_delay_alu instid0(VALU_DEP_4) | instskip(SKIP_4) | instid1(VALU_DEP_3)
	v_fma_f64 v[140:141], v[142:143], s[8:9], v[17:18]
	v_fma_f64 v[144:145], v[142:143], s[2:3], v[17:18]
	v_and_b32_e32 v17, 0xffff, v19
	v_add_co_u32 v18, s30, v167, -15
	v_add_co_ci_u32_e64 v19, null, 0, 0, s29
	v_mul_u32_u24_e32 v17, 0x96, v17
	s_delay_alu instid0(VALU_DEP_3) | instskip(NEXT) | instid1(VALU_DEP_2)
	v_cndmask_b32_e32 v18, v18, v16, vcc_lo
	v_add_lshl_u32 v17, v17, v148, 4
	scratch_store_b32 off, v17, off offset:560 ; 4-byte Folded Spill
	s_waitcnt_vscnt null, 0x0
	s_barrier
	buffer_gl0_inv
	ds_store_b128 v17, v[0:3]
	ds_store_b128 v17, v[4:7] offset:800
	ds_store_b128 v17, v[21:24] offset:1600
	v_mad_u16 v0, 0x96, v149, v150
	v_lshlrev_b32_e32 v17, 5, v167
	s_delay_alu instid0(VALU_DEP_2) | instskip(NEXT) | instid1(VALU_DEP_1)
	v_and_b32_e32 v0, 0xffff, v0
	v_lshlrev_b32_e32 v0, 4, v0
	scratch_store_b32 off, v0, off offset:556 ; 4-byte Folded Spill
	ds_store_b128 v0, v[25:28]
	ds_store_b128 v0, v[29:32] offset:800
	ds_store_b128 v0, v[33:36] offset:1600
	v_mad_u16 v0, 0x96, v151, v152
	v_fma_f64 v[142:143], v[146:147], s[2:3], v[106:107]
	v_fma_f64 v[146:147], v[146:147], s[8:9], v[106:107]
	s_delay_alu instid0(VALU_DEP_3) | instskip(NEXT) | instid1(VALU_DEP_1)
	v_and_b32_e32 v0, 0xffff, v0
	v_lshlrev_b32_e32 v0, 4, v0
	scratch_store_b32 off, v0, off offset:552 ; 4-byte Folded Spill
	ds_store_b128 v0, v[37:40]
	ds_store_b128 v0, v[41:44] offset:800
	ds_store_b128 v0, v[45:48] offset:1600
	v_mad_u16 v0, 0x96, v153, v154
	s_delay_alu instid0(VALU_DEP_1) | instskip(NEXT) | instid1(VALU_DEP_1)
	v_and_b32_e32 v0, 0xffff, v0
	v_lshlrev_b32_e32 v0, 4, v0
	scratch_store_b32 off, v0, off offset:548 ; 4-byte Folded Spill
	ds_store_b128 v0, v[49:52]
	ds_store_b128 v0, v[53:56] offset:800
	ds_store_b128 v0, v[57:60] offset:1600
	v_mad_u16 v0, 0x96, v155, v156
	s_delay_alu instid0(VALU_DEP_1) | instskip(NEXT) | instid1(VALU_DEP_1)
	;; [unrolled: 8-line block ×7, first 2 shown]
	v_and_b32_e32 v0, 0xffff, v0
	v_lshlrev_b32_e32 v0, 4, v0
	scratch_store_b32 off, v0, off offset:524 ; 4-byte Folded Spill
	ds_store_b128 v0, v[136:139]
	ds_store_b128 v0, v[140:143] offset:800
	ds_store_b128 v0, v[144:147] offset:1600
	s_waitcnt lgkmcnt(0)
	s_waitcnt_vscnt null, 0x0
	s_barrier
	buffer_gl0_inv
	s_clause 0x1
	global_load_b128 v[21:24], v17, s[10:11] offset:2240
	global_load_b128 v[25:28], v17, s[10:11] offset:2256
	ds_load_b128 v[2:5], v94 offset:21600
	ds_load_b128 v[132:135], v94 offset:19440
	scratch_store_b32 off, v167, off offset:488 ; 4-byte Folded Spill
	s_waitcnt vmcnt(1) lgkmcnt(1)
	v_mul_f64 v[0:1], v[4:5], v[23:24]
	scratch_store_b128 off, v[21:24], off offset:492 ; 16-byte Folded Spill
	s_waitcnt vmcnt(0)
	scratch_store_b128 off, v[25:28], off offset:508 ; 16-byte Folded Spill
	v_fma_f64 v[0:1], v[2:3], v[21:22], -v[0:1]
	v_mul_f64 v[2:3], v[2:3], v[23:24]
	s_delay_alu instid0(VALU_DEP_1) | instskip(SKIP_4) | instid1(VALU_DEP_2)
	v_fma_f64 v[2:3], v[4:5], v[21:22], v[2:3]
	ds_load_b128 v[21:24], v94 offset:43200
	s_waitcnt lgkmcnt(0)
	v_mul_f64 v[4:5], v[23:24], v[27:28]
	v_mul_f64 v[6:7], v[21:22], v[27:28]
	v_fma_f64 v[4:5], v[21:22], v[25:26], -v[4:5]
	v_add_co_ci_u32_e64 v21, null, 0, -1, s30
	s_delay_alu instid0(VALU_DEP_3) | instskip(NEXT) | instid1(VALU_DEP_2)
	v_fma_f64 v[6:7], v[23:24], v[25:26], v[6:7]
	v_cndmask_b32_e32 v19, v21, v19, vcc_lo
	s_delay_alu instid0(VALU_DEP_1) | instskip(SKIP_1) | instid1(VALU_DEP_2)
	v_lshlrev_b64 v[21:22], 5, v[18:19]
	v_lshrrev_b32_e32 v19, 22, v8
	v_add_co_u32 v25, vcc_lo, s10, v21
	s_delay_alu instid0(VALU_DEP_3)
	v_add_co_ci_u32_e32 v26, vcc_lo, s11, v22, vcc_lo
	ds_load_b128 v[21:24], v94 offset:23760
	v_mul_lo_u16 v8, 0x96, v19
	v_cmp_lt_u16_e32 vcc_lo, 14, v119
	global_load_b128 v[29:32], v[25:26], off offset:2240
	v_sub_nc_u16 v144, v20, v8
	s_delay_alu instid0(VALU_DEP_1) | instskip(NEXT) | instid1(VALU_DEP_1)
	v_lshlrev_b16 v8, 5, v144
	v_and_b32_e32 v8, 0xffff, v8
	s_waitcnt vmcnt(0) lgkmcnt(0)
	v_mul_f64 v[27:28], v[23:24], v[31:32]
	scratch_store_b128 off, v[29:32], off offset:1708 ; 16-byte Folded Spill
	v_fma_f64 v[27:28], v[21:22], v[29:30], -v[27:28]
	v_mul_f64 v[21:22], v[21:22], v[31:32]
	global_load_b128 v[31:34], v[25:26], off offset:2256
	v_fma_f64 v[29:30], v[23:24], v[29:30], v[21:22]
	ds_load_b128 v[21:24], v94 offset:45360
	s_waitcnt vmcnt(0) lgkmcnt(0)
	v_mul_f64 v[25:26], v[23:24], v[33:34]
	scratch_store_b128 off, v[31:34], off offset:1628 ; 16-byte Folded Spill
	v_fma_f64 v[25:26], v[21:22], v[31:32], -v[25:26]
	v_mul_f64 v[21:22], v[21:22], v[33:34]
	v_add_co_u32 v33, s29, s10, v8
	s_delay_alu instid0(VALU_DEP_1)
	v_add_co_ci_u32_e64 v34, null, s11, 0, s29
	v_mul_u32_u24_e32 v8, 0xda75, v9
	s_clause 0x1
	global_load_b128 v[39:42], v[33:34], off offset:2240
	global_load_b128 v[43:46], v[33:34], off offset:2256
	v_lshrrev_b32_e32 v145, 22, v8
	s_delay_alu instid0(VALU_DEP_1) | instskip(NEXT) | instid1(VALU_DEP_1)
	v_mul_lo_u16 v8, 0x96, v145
	v_sub_nc_u16 v146, v97, v8
	s_delay_alu instid0(VALU_DEP_1) | instskip(NEXT) | instid1(VALU_DEP_1)
	v_lshlrev_b16 v8, 5, v146
	v_and_b32_e32 v8, 0xffff, v8
	s_delay_alu instid0(VALU_DEP_1) | instskip(NEXT) | instid1(VALU_DEP_1)
	v_add_co_u32 v8, s29, s10, v8
	v_add_co_ci_u32_e64 v9, null, s11, 0, s29
	v_fma_f64 v[31:32], v[23:24], v[31:32], v[21:22]
	ds_load_b128 v[21:24], v94 offset:25920
	s_waitcnt vmcnt(1) lgkmcnt(0)
	v_mul_f64 v[35:36], v[23:24], v[41:42]
	scratch_store_b128 off, v[39:42], off offset:1676 ; 16-byte Folded Spill
	s_waitcnt vmcnt(0)
	scratch_store_b128 off, v[43:46], off offset:1692 ; 16-byte Folded Spill
	v_fma_f64 v[37:38], v[21:22], v[39:40], -v[35:36]
	v_mul_f64 v[21:22], v[21:22], v[41:42]
	s_delay_alu instid0(VALU_DEP_1) | instskip(SKIP_3) | instid1(VALU_DEP_1)
	v_fma_f64 v[39:40], v[23:24], v[39:40], v[21:22]
	ds_load_b128 v[21:24], v94 offset:47520
	s_waitcnt lgkmcnt(0)
	v_mul_f64 v[33:34], v[23:24], v[45:46]
	v_fma_f64 v[41:42], v[21:22], v[43:44], -v[33:34]
	v_mul_f64 v[21:22], v[21:22], v[45:46]
	global_load_b128 v[45:48], v[8:9], off offset:2240
	v_fma_f64 v[43:44], v[23:24], v[43:44], v[21:22]
	ds_load_b128 v[21:24], v94 offset:28080
	s_waitcnt vmcnt(0) lgkmcnt(0)
	v_mul_f64 v[33:34], v[23:24], v[47:48]
	s_delay_alu instid0(VALU_DEP_1)
	v_fma_f64 v[49:50], v[21:22], v[45:46], -v[33:34]
	global_load_b128 v[33:36], v[8:9], off offset:2256
	v_mul_f64 v[21:22], v[21:22], v[47:48]
	scratch_store_b128 off, v[45:48], off offset:1660 ; 16-byte Folded Spill
	v_fma_f64 v[51:52], v[23:24], v[45:46], v[21:22]
	ds_load_b128 v[21:24], v94 offset:49680
	s_waitcnt vmcnt(0)
	scratch_store_b128 off, v[33:36], off offset:1564 ; 16-byte Folded Spill
	s_waitcnt lgkmcnt(0)
	v_mul_f64 v[8:9], v[23:24], v[35:36]
	s_delay_alu instid0(VALU_DEP_1) | instskip(SKIP_1) | instid1(VALU_DEP_1)
	v_fma_f64 v[53:54], v[21:22], v[33:34], -v[8:9]
	v_mul_f64 v[8:9], v[21:22], v[35:36]
	v_fma_f64 v[55:56], v[23:24], v[33:34], v[8:9]
	v_mul_u32_u24_e32 v8, 0xda75, v10
	ds_load_b128 v[21:24], v94 offset:30240
	v_lshrrev_b32_e32 v147, 22, v8
	s_delay_alu instid0(VALU_DEP_1) | instskip(NEXT) | instid1(VALU_DEP_1)
	v_mul_lo_u16 v8, 0x96, v147
	v_sub_nc_u16 v148, v96, v8
	s_delay_alu instid0(VALU_DEP_1) | instskip(NEXT) | instid1(VALU_DEP_1)
	v_lshlrev_b16 v8, 5, v148
	v_and_b32_e32 v8, 0xffff, v8
	s_delay_alu instid0(VALU_DEP_1) | instskip(NEXT) | instid1(VALU_DEP_1)
	v_add_co_u32 v8, s29, s10, v8
	v_add_co_ci_u32_e64 v9, null, s11, 0, s29
	global_load_b128 v[45:48], v[8:9], off offset:2240
	v_add_f64 v[57:58], v[51:52], v[55:56]
	s_waitcnt vmcnt(0) lgkmcnt(0)
	v_mul_f64 v[33:34], v[23:24], v[47:48]
	s_delay_alu instid0(VALU_DEP_1) | instskip(SKIP_2) | instid1(VALU_DEP_1)
	v_fma_f64 v[61:62], v[21:22], v[45:46], -v[33:34]
	global_load_b128 v[33:36], v[8:9], off offset:2256
	v_mul_f64 v[21:22], v[21:22], v[47:48]
	v_fma_f64 v[63:64], v[23:24], v[45:46], v[21:22]
	ds_load_b128 v[21:24], v94 offset:51840
	s_waitcnt vmcnt(0) lgkmcnt(0)
	v_mul_f64 v[8:9], v[23:24], v[35:36]
	scratch_store_b128 off, v[33:36], off offset:1644 ; 16-byte Folded Spill
	v_fma_f64 v[65:66], v[21:22], v[33:34], -v[8:9]
	v_mul_f64 v[8:9], v[21:22], v[35:36]
	s_delay_alu instid0(VALU_DEP_1) | instskip(SKIP_1) | instid1(VALU_DEP_1)
	v_fma_f64 v[67:68], v[23:24], v[33:34], v[8:9]
	v_mul_u32_u24_e32 v8, 0xda75, v11
	v_lshrrev_b32_e32 v149, 22, v8
	s_delay_alu instid0(VALU_DEP_1) | instskip(NEXT) | instid1(VALU_DEP_1)
	v_mul_lo_u16 v8, 0x96, v149
	v_sub_nc_u16 v150, v93, v8
	s_delay_alu instid0(VALU_DEP_1) | instskip(NEXT) | instid1(VALU_DEP_1)
	v_lshlrev_b16 v8, 5, v150
	v_and_b32_e32 v8, 0xffff, v8
	s_delay_alu instid0(VALU_DEP_1) | instskip(NEXT) | instid1(VALU_DEP_1)
	v_add_co_u32 v21, s29, s10, v8
	v_add_co_ci_u32_e64 v22, null, s11, 0, s29
	ds_load_b128 v[8:11], v94 offset:32400
	global_load_b128 v[33:36], v[21:22], off offset:2240
	v_add_f64 v[69:70], v[63:64], v[67:68]
	s_waitcnt vmcnt(0) lgkmcnt(0)
	v_mul_f64 v[23:24], v[10:11], v[35:36]
	scratch_store_b128 off, v[33:36], off offset:1596 ; 16-byte Folded Spill
	v_fma_f64 v[73:74], v[8:9], v[33:34], -v[23:24]
	v_mul_f64 v[8:9], v[8:9], v[35:36]
	s_delay_alu instid0(VALU_DEP_1)
	v_fma_f64 v[75:76], v[10:11], v[33:34], v[8:9]
	global_load_b128 v[33:36], v[21:22], off offset:2256
	ds_load_b128 v[8:11], v94 offset:54000
	s_waitcnt vmcnt(0) lgkmcnt(0)
	v_mul_f64 v[21:22], v[10:11], v[35:36]
	scratch_store_b128 off, v[33:36], off offset:1500 ; 16-byte Folded Spill
	v_fma_f64 v[77:78], v[8:9], v[33:34], -v[21:22]
	v_mul_f64 v[8:9], v[8:9], v[35:36]
	s_delay_alu instid0(VALU_DEP_1) | instskip(SKIP_1) | instid1(VALU_DEP_1)
	v_fma_f64 v[79:80], v[10:11], v[33:34], v[8:9]
	v_mul_u32_u24_e32 v8, 0xda75, v12
	v_lshrrev_b32_e32 v151, 22, v8
	s_delay_alu instid0(VALU_DEP_1) | instskip(NEXT) | instid1(VALU_DEP_1)
	v_mul_lo_u16 v8, 0x96, v151
	v_sub_nc_u16 v152, v101, v8
	s_delay_alu instid0(VALU_DEP_1) | instskip(NEXT) | instid1(VALU_DEP_1)
	v_lshlrev_b16 v8, 5, v152
	v_and_b32_e32 v8, 0xffff, v8
	s_delay_alu instid0(VALU_DEP_1) | instskip(NEXT) | instid1(VALU_DEP_1)
	v_add_co_u32 v21, s29, s10, v8
	v_add_co_ci_u32_e64 v22, null, s11, 0, s29
	ds_load_b128 v[8:11], v94 offset:34560
	global_load_b128 v[33:36], v[21:22], off offset:2240
	v_add_f64 v[81:82], v[75:76], v[79:80]
	s_waitcnt vmcnt(0) lgkmcnt(0)
	v_mul_f64 v[23:24], v[10:11], v[35:36]
	scratch_store_b128 off, v[33:36], off offset:1548 ; 16-byte Folded Spill
	v_fma_f64 v[85:86], v[8:9], v[33:34], -v[23:24]
	v_mul_f64 v[8:9], v[8:9], v[35:36]
	s_delay_alu instid0(VALU_DEP_1)
	v_fma_f64 v[87:88], v[10:11], v[33:34], v[8:9]
	global_load_b128 v[33:36], v[21:22], off offset:2256
	ds_load_b128 v[8:11], v94 offset:56160
	s_waitcnt vmcnt(0) lgkmcnt(0)
	v_mul_f64 v[21:22], v[10:11], v[35:36]
	scratch_store_b128 off, v[33:36], off offset:1580 ; 16-byte Folded Spill
	v_fma_f64 v[89:90], v[8:9], v[33:34], -v[21:22]
	v_mul_f64 v[8:9], v[8:9], v[35:36]
	s_delay_alu instid0(VALU_DEP_1) | instskip(SKIP_1) | instid1(VALU_DEP_1)
	v_fma_f64 v[91:92], v[10:11], v[33:34], v[8:9]
	v_mul_u32_u24_e32 v8, 0xda75, v13
	v_lshrrev_b32_e32 v153, 22, v8
	s_delay_alu instid0(VALU_DEP_1) | instskip(NEXT) | instid1(VALU_DEP_1)
	v_mul_lo_u16 v8, 0x96, v153
	v_sub_nc_u16 v154, v100, v8
	s_delay_alu instid0(VALU_DEP_1) | instskip(NEXT) | instid1(VALU_DEP_1)
	v_lshlrev_b16 v8, 5, v154
	v_and_b32_e32 v8, 0xffff, v8
	s_delay_alu instid0(VALU_DEP_1) | instskip(NEXT) | instid1(VALU_DEP_1)
	v_add_co_u32 v12, s29, s10, v8
	v_add_co_ci_u32_e64 v13, null, s11, 0, s29
	ds_load_b128 v[8:11], v94 offset:36720
	global_load_b128 v[33:36], v[12:13], off offset:2240
	v_add_f64 v[102:103], v[87:88], v[91:92]
	s_waitcnt vmcnt(0) lgkmcnt(0)
	v_mul_f64 v[21:22], v[10:11], v[35:36]
	s_delay_alu instid0(VALU_DEP_1)
	v_fma_f64 v[106:107], v[8:9], v[33:34], -v[21:22]
	global_load_b128 v[21:24], v[12:13], off offset:2256
	v_mul_f64 v[8:9], v[8:9], v[35:36]
	scratch_store_b128 off, v[33:36], off offset:1532 ; 16-byte Folded Spill
	v_fma_f64 v[110:111], v[10:11], v[33:34], v[8:9]
	ds_load_b128 v[8:11], v94 offset:58320
	s_waitcnt vmcnt(0)
	scratch_store_b128 off, v[21:24], off offset:1452 ; 16-byte Folded Spill
	s_waitcnt lgkmcnt(0)
	v_mul_f64 v[12:13], v[10:11], v[23:24]
	s_delay_alu instid0(VALU_DEP_1) | instskip(SKIP_1) | instid1(VALU_DEP_1)
	v_fma_f64 v[112:113], v[8:9], v[21:22], -v[12:13]
	v_mul_f64 v[8:9], v[8:9], v[23:24]
	v_fma_f64 v[114:115], v[10:11], v[21:22], v[8:9]
	v_mul_u32_u24_e32 v8, 0xda75, v14
	s_delay_alu instid0(VALU_DEP_1) | instskip(NEXT) | instid1(VALU_DEP_1)
	v_lshrrev_b32_e32 v155, 22, v8
	v_mul_lo_u16 v8, 0x96, v155
	s_delay_alu instid0(VALU_DEP_1) | instskip(NEXT) | instid1(VALU_DEP_1)
	v_sub_nc_u16 v156, v99, v8
	v_lshlrev_b16 v8, 5, v156
	s_delay_alu instid0(VALU_DEP_1) | instskip(NEXT) | instid1(VALU_DEP_1)
	v_and_b32_e32 v8, 0xffff, v8
	v_add_co_u32 v12, s29, s10, v8
	s_delay_alu instid0(VALU_DEP_1)
	v_add_co_ci_u32_e64 v13, null, s11, 0, s29
	ds_load_b128 v[8:11], v94 offset:38880
	global_load_b128 v[33:36], v[12:13], off offset:2240
	v_add_f64 v[116:117], v[110:111], v[114:115]
	v_add_f64 v[120:121], v[110:111], -v[114:115]
	s_waitcnt vmcnt(0) lgkmcnt(0)
	v_mul_f64 v[21:22], v[10:11], v[35:36]
	s_delay_alu instid0(VALU_DEP_1) | instskip(SKIP_2) | instid1(VALU_DEP_1)
	v_fma_f64 v[124:125], v[8:9], v[33:34], -v[21:22]
	global_load_b128 v[21:24], v[12:13], off offset:2256
	v_mul_f64 v[8:9], v[8:9], v[35:36]
	v_fma_f64 v[126:127], v[10:11], v[33:34], v[8:9]
	ds_load_b128 v[8:11], v94 offset:60480
	s_waitcnt vmcnt(0) lgkmcnt(0)
	v_mul_f64 v[12:13], v[10:11], v[23:24]
	scratch_store_b128 off, v[21:24], off offset:1516 ; 16-byte Folded Spill
	v_fma_f64 v[128:129], v[8:9], v[21:22], -v[12:13]
	v_mul_f64 v[8:9], v[8:9], v[23:24]
	s_delay_alu instid0(VALU_DEP_1) | instskip(SKIP_1) | instid1(VALU_DEP_1)
	v_fma_f64 v[130:131], v[10:11], v[21:22], v[8:9]
	v_mul_u32_u24_e32 v8, 0xda75, v15
	v_lshrrev_b32_e32 v8, 22, v8
	s_delay_alu instid0(VALU_DEP_1) | instskip(NEXT) | instid1(VALU_DEP_1)
	v_mul_lo_u16 v8, 0x96, v8
	v_sub_nc_u16 v157, v98, v8
	s_delay_alu instid0(VALU_DEP_1) | instskip(NEXT) | instid1(VALU_DEP_1)
	v_lshlrev_b16 v8, 5, v157
	v_and_b32_e32 v8, 0xffff, v8
	s_delay_alu instid0(VALU_DEP_1) | instskip(NEXT) | instid1(VALU_DEP_1)
	v_add_co_u32 v12, s29, s10, v8
	v_add_co_ci_u32_e64 v13, null, s11, 0, s29
	ds_load_b128 v[8:11], v94 offset:41040
	global_load_b128 v[21:24], v[12:13], off offset:2240
	scratch_store_b128 off, v[45:48], off offset:1612 ; 16-byte Folded Spill
	v_add_f64 v[45:46], v[39:40], v[43:44]
	s_waitcnt vmcnt(0)
	scratch_store_b128 off, v[21:24], off offset:1468 ; 16-byte Folded Spill
	s_waitcnt lgkmcnt(0)
	v_mul_f64 v[14:15], v[10:11], v[23:24]
	s_delay_alu instid0(VALU_DEP_1) | instskip(SKIP_1) | instid1(VALU_DEP_1)
	v_fma_f64 v[14:15], v[8:9], v[21:22], -v[14:15]
	v_mul_f64 v[8:9], v[8:9], v[23:24]
	v_fma_f64 v[136:137], v[10:11], v[21:22], v[8:9]
	global_load_b128 v[21:24], v[12:13], off offset:2256
	ds_load_b128 v[8:11], v94 offset:62640
	scratch_store_b128 off, v[33:36], off offset:1484 ; 16-byte Folded Spill
	v_add_f64 v[33:34], v[29:30], v[31:32]
	s_waitcnt vmcnt(0)
	scratch_store_b128 off, v[21:24], off offset:1436 ; 16-byte Folded Spill
	s_waitcnt lgkmcnt(0)
	v_mul_f64 v[12:13], v[10:11], v[23:24]
	s_delay_alu instid0(VALU_DEP_1) | instskip(SKIP_2) | instid1(VALU_DEP_2)
	v_fma_f64 v[138:139], v[8:9], v[21:22], -v[12:13]
	v_mul_f64 v[8:9], v[8:9], v[23:24]
	v_add_f64 v[12:13], v[0:1], v[4:5]
	v_fma_f64 v[140:141], v[10:11], v[21:22], v[8:9]
	v_add_f64 v[21:22], v[2:3], v[6:7]
	ds_load_b128 v[8:11], v94
	s_waitcnt lgkmcnt(0)
	v_add_f64 v[23:24], v[8:9], v[0:1]
	v_fma_f64 v[12:13], v[12:13], -0.5, v[8:9]
	v_add_f64 v[142:143], v[136:137], -v[140:141]
	v_fma_f64 v[21:22], v[21:22], -0.5, v[10:11]
	v_add_f64 v[10:11], v[10:11], v[2:3]
	v_add_f64 v[2:3], v[2:3], -v[6:7]
	s_delay_alu instid0(VALU_DEP_2) | instskip(SKIP_2) | instid1(VALU_DEP_4)
	v_add_f64 v[8:9], v[10:11], v[6:7]
	v_add_f64 v[6:7], v[23:24], v[4:5]
	v_add_f64 v[4:5], v[0:1], -v[4:5]
	v_fma_f64 v[0:1], v[2:3], s[8:9], v[12:13]
	v_fma_f64 v[10:11], v[2:3], s[2:3], v[12:13]
	s_delay_alu instid0(VALU_DEP_3)
	v_fma_f64 v[2:3], v[4:5], s[2:3], v[21:22]
	v_fma_f64 v[12:13], v[4:5], s[8:9], v[21:22]
	ds_load_b128 v[21:24], v94 offset:2160
	v_add_f64 v[4:5], v[27:28], v[25:26]
	s_waitcnt lgkmcnt(0)
	v_fma_f64 v[33:34], v[33:34], -0.5, v[23:24]
	v_add_f64 v[23:24], v[23:24], v[29:30]
	v_add_f64 v[29:30], v[29:30], -v[31:32]
	s_delay_alu instid0(VALU_DEP_4) | instskip(SKIP_1) | instid1(VALU_DEP_4)
	v_fma_f64 v[4:5], v[4:5], -0.5, v[21:22]
	v_add_f64 v[21:22], v[21:22], v[27:28]
	v_add_f64 v[23:24], v[23:24], v[31:32]
	v_add_f64 v[31:32], v[27:28], -v[25:26]
	s_delay_alu instid0(VALU_DEP_3)
	v_add_f64 v[21:22], v[21:22], v[25:26]
	v_fma_f64 v[25:26], v[29:30], s[8:9], v[4:5]
	v_fma_f64 v[29:30], v[29:30], s[2:3], v[4:5]
	v_add_f64 v[4:5], v[37:38], v[41:42]
	v_fma_f64 v[27:28], v[31:32], s[2:3], v[33:34]
	v_fma_f64 v[31:32], v[31:32], s[8:9], v[33:34]
	ds_load_b128 v[33:36], v94 offset:4320
	s_waitcnt lgkmcnt(0)
	v_fma_f64 v[45:46], v[45:46], -0.5, v[35:36]
	v_add_f64 v[35:36], v[35:36], v[39:40]
	v_fma_f64 v[4:5], v[4:5], -0.5, v[33:34]
	v_add_f64 v[33:34], v[33:34], v[37:38]
	v_add_f64 v[39:40], v[39:40], -v[43:44]
	s_delay_alu instid0(VALU_DEP_4) | instskip(SKIP_1) | instid1(VALU_DEP_4)
	v_add_f64 v[35:36], v[35:36], v[43:44]
	v_add_f64 v[43:44], v[37:38], -v[41:42]
	v_add_f64 v[33:34], v[33:34], v[41:42]
	s_delay_alu instid0(VALU_DEP_4)
	v_fma_f64 v[37:38], v[39:40], s[8:9], v[4:5]
	v_fma_f64 v[41:42], v[39:40], s[2:3], v[4:5]
	v_add_f64 v[4:5], v[49:50], v[53:54]
	v_fma_f64 v[39:40], v[43:44], s[2:3], v[45:46]
	v_fma_f64 v[43:44], v[43:44], s[8:9], v[45:46]
	ds_load_b128 v[45:48], v94 offset:6480
	s_waitcnt lgkmcnt(0)
	v_fma_f64 v[57:58], v[57:58], -0.5, v[47:48]
	v_add_f64 v[47:48], v[47:48], v[51:52]
	v_fma_f64 v[4:5], v[4:5], -0.5, v[45:46]
	v_add_f64 v[45:46], v[45:46], v[49:50]
	v_add_f64 v[51:52], v[51:52], -v[55:56]
	s_delay_alu instid0(VALU_DEP_4) | instskip(SKIP_1) | instid1(VALU_DEP_4)
	v_add_f64 v[47:48], v[47:48], v[55:56]
	v_add_f64 v[55:56], v[49:50], -v[53:54]
	v_add_f64 v[45:46], v[45:46], v[53:54]
	s_delay_alu instid0(VALU_DEP_4)
	;; [unrolled: 17-line block ×5, first 2 shown]
	v_fma_f64 v[85:86], v[87:88], s[8:9], v[4:5]
	v_fma_f64 v[89:90], v[87:88], s[2:3], v[4:5]
	v_add_f64 v[4:5], v[106:107], v[112:113]
	v_fma_f64 v[87:88], v[91:92], s[2:3], v[102:103]
	v_fma_f64 v[91:92], v[91:92], s[8:9], v[102:103]
	ds_load_b128 v[102:105], v94 offset:15120
	s_waitcnt lgkmcnt(0)
	v_fma_f64 v[4:5], v[4:5], -0.5, v[102:103]
	v_fma_f64 v[116:117], v[116:117], -0.5, v[104:105]
	v_add_f64 v[102:103], v[102:103], v[106:107]
	v_add_f64 v[106:107], v[106:107], -v[112:113]
	v_add_f64 v[104:105], v[104:105], v[110:111]
	v_fma_f64 v[110:111], v[120:121], s[8:9], v[4:5]
	s_delay_alu instid0(VALU_DEP_4) | instskip(NEXT) | instid1(VALU_DEP_4)
	v_add_f64 v[102:103], v[102:103], v[112:113]
	v_fma_f64 v[112:113], v[106:107], s[2:3], v[116:117]
	v_fma_f64 v[116:117], v[106:107], s[8:9], v[116:117]
	v_add_f64 v[106:107], v[126:127], v[130:131]
	v_add_f64 v[104:105], v[104:105], v[114:115]
	v_fma_f64 v[114:115], v[120:121], s[2:3], v[4:5]
	ds_load_b128 v[120:123], v94 offset:17280
	v_add_f64 v[4:5], v[124:125], v[128:129]
	s_waitcnt lgkmcnt(0)
	s_waitcnt_vscnt null, 0x0
	s_barrier
	buffer_gl0_inv
	ds_store_b128 v94, v[6:9]
	ds_store_b128 v94, v[0:3] offset:2400
	ds_store_b128 v94, v[10:13] offset:4800
	v_cndmask_b32_e64 v0, 0, 0x1c2, vcc_lo
	s_delay_alu instid0(VALU_DEP_1)
	v_add_lshl_u32 v0, v18, v0, 4
	scratch_store_b32 off, v0, off offset:1432 ; 4-byte Folded Spill
	ds_store_b128 v0, v[21:24]
	ds_store_b128 v0, v[25:28] offset:2400
	ds_store_b128 v0, v[29:32] offset:4800
	v_mad_u16 v0, 0x1c2, v19, v144
	s_delay_alu instid0(VALU_DEP_1) | instskip(NEXT) | instid1(VALU_DEP_1)
	v_and_b32_e32 v0, 0xffff, v0
	v_lshlrev_b32_e32 v0, 4, v0
	scratch_store_b32 off, v0, off offset:1428 ; 4-byte Folded Spill
	ds_store_b128 v0, v[33:36]
	ds_store_b128 v0, v[37:40] offset:2400
	ds_store_b128 v0, v[41:44] offset:4800
	v_fma_f64 v[106:107], v[106:107], -0.5, v[122:123]
	v_add_f64 v[122:123], v[122:123], v[126:127]
	v_add_f64 v[126:127], v[126:127], -v[130:131]
	v_mad_u16 v0, 0x1c2, v145, v146
	v_fma_f64 v[4:5], v[4:5], -0.5, v[120:121]
	v_add_f64 v[120:121], v[120:121], v[124:125]
	s_delay_alu instid0(VALU_DEP_3) | instskip(NEXT) | instid1(VALU_DEP_1)
	v_and_b32_e32 v0, 0xffff, v0
	v_lshlrev_b32_e32 v0, 4, v0
	scratch_store_b32 off, v0, off offset:1424 ; 4-byte Folded Spill
	ds_store_b128 v0, v[45:48]
	ds_store_b128 v0, v[49:52] offset:2400
	ds_store_b128 v0, v[53:56] offset:4800
	v_mad_u16 v0, 0x1c2, v147, v148
	s_delay_alu instid0(VALU_DEP_1) | instskip(NEXT) | instid1(VALU_DEP_1)
	v_and_b32_e32 v0, 0xffff, v0
	v_lshlrev_b32_e32 v0, 4, v0
	scratch_store_b32 off, v0, off offset:1420 ; 4-byte Folded Spill
	ds_store_b128 v0, v[57:60]
	ds_store_b128 v0, v[61:64] offset:2400
	ds_store_b128 v0, v[65:68] offset:4800
	v_mad_u16 v0, 0x1c2, v149, v150
	v_add_f64 v[122:123], v[122:123], v[130:131]
	v_add_f64 v[130:131], v[124:125], -v[128:129]
	v_fma_f64 v[124:125], v[126:127], s[8:9], v[4:5]
	v_add_f64 v[120:121], v[120:121], v[128:129]
	v_fma_f64 v[128:129], v[126:127], s[2:3], v[4:5]
	v_add_f64 v[4:5], v[14:15], v[138:139]
	v_and_b32_e32 v0, 0xffff, v0
	s_delay_alu instid0(VALU_DEP_1)
	v_lshlrev_b32_e32 v0, 4, v0
	scratch_store_b32 off, v0, off offset:1416 ; 4-byte Folded Spill
	ds_store_b128 v0, v[69:72]
	ds_store_b128 v0, v[73:76] offset:2400
	ds_store_b128 v0, v[77:80] offset:4800
	v_mad_u16 v0, 0x1c2, v151, v152
	s_delay_alu instid0(VALU_DEP_1) | instskip(NEXT) | instid1(VALU_DEP_1)
	v_and_b32_e32 v0, 0xffff, v0
	v_lshlrev_b32_e32 v0, 4, v0
	scratch_store_b32 off, v0, off offset:1412 ; 4-byte Folded Spill
	ds_store_b128 v0, v[81:84]
	ds_store_b128 v0, v[85:88] offset:2400
	ds_store_b128 v0, v[89:92] offset:4800
	v_mad_u16 v0, 0x1c2, v153, v154
	v_fma_f64 v[126:127], v[130:131], s[2:3], v[106:107]
	v_fma_f64 v[130:131], v[130:131], s[8:9], v[106:107]
	v_add_f64 v[106:107], v[136:137], v[140:141]
	s_delay_alu instid0(VALU_DEP_4) | instskip(SKIP_3) | instid1(VALU_DEP_4)
	v_and_b32_e32 v0, 0xffff, v0
	v_fma_f64 v[4:5], v[4:5], -0.5, v[132:133]
	v_add_f64 v[132:133], v[132:133], v[14:15]
	v_add_f64 v[14:15], v[14:15], -v[138:139]
	v_lshlrev_b32_e32 v0, 4, v0
	scratch_store_b32 off, v0, off offset:1404 ; 4-byte Folded Spill
	ds_store_b128 v0, v[102:105]
	ds_store_b128 v0, v[110:113] offset:2400
	ds_store_b128 v0, v[114:117] offset:4800
	v_mad_u16 v0, 0x1c2, v155, v156
	s_delay_alu instid0(VALU_DEP_1) | instskip(NEXT) | instid1(VALU_DEP_1)
	v_and_b32_e32 v0, 0xffff, v0
	v_lshlrev_b32_e32 v0, 4, v0
	scratch_store_b32 off, v0, off offset:1400 ; 4-byte Folded Spill
	ds_store_b128 v0, v[120:123]
	ds_store_b128 v0, v[124:127] offset:2400
	ds_store_b128 v0, v[128:131] offset:4800
	v_and_b32_e32 v0, 0xffff, v157
	v_fma_f64 v[106:107], v[106:107], -0.5, v[134:135]
	v_add_f64 v[134:135], v[134:135], v[136:137]
	v_fma_f64 v[136:137], v[142:143], s[8:9], v[4:5]
	v_add_f64 v[132:133], v[132:133], v[138:139]
	v_lshlrev_b32_e32 v0, 4, v0
	scratch_store_b32 off, v0, off offset:1396 ; 4-byte Folded Spill
	v_fma_f64 v[138:139], v[14:15], s[2:3], v[106:107]
	v_add_f64 v[134:135], v[134:135], v[140:141]
	v_fma_f64 v[140:141], v[142:143], s[2:3], v[4:5]
	v_fma_f64 v[142:143], v[14:15], s[8:9], v[106:107]
	v_add_co_u32 v106, s29, s10, v17
	s_delay_alu instid0(VALU_DEP_1)
	v_add_co_ci_u32_e64 v107, null, s11, 0, s29
	ds_store_b128 v0, v[132:135] offset:57600
	ds_store_b128 v0, v[136:139] offset:60000
	ds_store_b128 v0, v[140:143] offset:62400
	v_add_co_u32 v0, vcc_lo, 0x1000, v106
	v_add_co_ci_u32_e32 v1, vcc_lo, 0, v107, vcc_lo
	s_waitcnt lgkmcnt(0)
	s_waitcnt_vscnt null, 0x0
	s_barrier
	buffer_gl0_inv
	global_load_b128 v[6:9], v[0:1], off offset:2944
	ds_load_b128 v[2:5], v94 offset:21600
	ds_load_b128 v[156:159], v94 offset:17280
	;; [unrolled: 1-line block ×6, first 2 shown]
	s_waitcnt vmcnt(0) lgkmcnt(5)
	v_mul_f64 v[0:1], v[4:5], v[8:9]
	s_delay_alu instid0(VALU_DEP_1) | instskip(SKIP_1) | instid1(VALU_DEP_1)
	v_fma_f64 v[0:1], v[2:3], v[6:7], -v[0:1]
	v_mul_f64 v[2:3], v[2:3], v[8:9]
	v_fma_f64 v[2:3], v[4:5], v[6:7], v[2:3]
	v_add_co_u32 v4, vcc_lo, 0x1b80, v106
	v_add_co_ci_u32_e32 v5, vcc_lo, 0, v107, vcc_lo
	global_load_b128 v[10:13], v[4:5], off offset:16
	scratch_store_b128 off, v[6:9], off offset:1364 ; 16-byte Folded Spill
	ds_load_b128 v[6:9], v94 offset:43200
	s_waitcnt vmcnt(0) lgkmcnt(0)
	v_mul_f64 v[4:5], v[8:9], v[12:13]
	s_delay_alu instid0(VALU_DEP_1) | instskip(SKIP_1) | instid1(VALU_DEP_1)
	v_fma_f64 v[4:5], v[6:7], v[10:11], -v[4:5]
	v_mul_f64 v[6:7], v[6:7], v[12:13]
	v_fma_f64 v[6:7], v[8:9], v[10:11], v[6:7]
	v_lshlrev_b32_e32 v8, 5, v16
	s_delay_alu instid0(VALU_DEP_1) | instskip(NEXT) | instid1(VALU_DEP_1)
	v_add_co_u32 v104, s29, s10, v8
	v_add_co_ci_u32_e64 v105, null, s11, 0, s29
	s_delay_alu instid0(VALU_DEP_2) | instskip(NEXT) | instid1(VALU_DEP_2)
	v_add_co_u32 v8, vcc_lo, 0x1000, v104
	v_add_co_ci_u32_e32 v9, vcc_lo, 0, v105, vcc_lo
	global_load_b128 v[14:17], v[8:9], off offset:2944
	scratch_store_b128 off, v[10:13], off offset:1380 ; 16-byte Folded Spill
	ds_load_b128 v[8:11], v94 offset:23760
	s_waitcnt vmcnt(0)
	scratch_store_b128 off, v[14:17], off offset:1344 ; 16-byte Folded Spill
	s_waitcnt lgkmcnt(0)
	v_mul_f64 v[12:13], v[10:11], v[16:17]
	s_delay_alu instid0(VALU_DEP_1) | instskip(SKIP_1) | instid1(VALU_DEP_1)
	v_fma_f64 v[12:13], v[8:9], v[14:15], -v[12:13]
	v_mul_f64 v[8:9], v[8:9], v[16:17]
	v_fma_f64 v[16:17], v[10:11], v[14:15], v[8:9]
	v_add_co_u32 v8, vcc_lo, 0x1b80, v104
	v_add_co_ci_u32_e32 v9, vcc_lo, 0, v105, vcc_lo
	global_load_b128 v[21:24], v[8:9], off offset:16
	ds_load_b128 v[8:11], v94 offset:45360
	s_waitcnt vmcnt(0) lgkmcnt(0)
	v_mul_f64 v[14:15], v[10:11], v[23:24]
	s_delay_alu instid0(VALU_DEP_1) | instskip(SKIP_1) | instid1(VALU_DEP_1)
	v_fma_f64 v[14:15], v[8:9], v[21:22], -v[14:15]
	v_mul_f64 v[8:9], v[8:9], v[23:24]
	v_fma_f64 v[18:19], v[10:11], v[21:22], v[8:9]
	v_lshlrev_b32_e32 v8, 5, v20
	s_delay_alu instid0(VALU_DEP_1) | instskip(NEXT) | instid1(VALU_DEP_1)
	v_add_co_u32 v102, s29, s10, v8
	v_add_co_ci_u32_e64 v103, null, s11, 0, s29
	s_delay_alu instid0(VALU_DEP_2) | instskip(NEXT) | instid1(VALU_DEP_2)
	v_add_co_u32 v8, vcc_lo, 0x1000, v102
	v_add_co_ci_u32_e32 v9, vcc_lo, 0, v103, vcc_lo
	global_load_b128 v[26:29], v[8:9], off offset:2944
	ds_load_b128 v[8:11], v94 offset:25920
	scratch_store_b128 off, v[21:24], off offset:1296 ; 16-byte Folded Spill
	v_add_f64 v[115:116], v[16:17], -v[18:19]
	s_waitcnt vmcnt(0)
	scratch_store_b128 off, v[26:29], off offset:1312 ; 16-byte Folded Spill
	s_waitcnt lgkmcnt(0)
	v_mul_f64 v[20:21], v[10:11], v[28:29]
	s_delay_alu instid0(VALU_DEP_1) | instskip(SKIP_1) | instid1(VALU_DEP_1)
	v_fma_f64 v[24:25], v[8:9], v[26:27], -v[20:21]
	v_mul_f64 v[8:9], v[8:9], v[28:29]
	v_fma_f64 v[26:27], v[10:11], v[26:27], v[8:9]
	v_add_co_u32 v8, vcc_lo, 0x1b80, v102
	v_add_co_ci_u32_e32 v9, vcc_lo, 0, v103, vcc_lo
	v_cmp_gt_u16_e32 vcc_lo, 45, v119
	global_load_b128 v[30:33], v[8:9], off offset:16
	ds_load_b128 v[8:11], v94 offset:47520
	s_waitcnt vmcnt(0) lgkmcnt(0)
	v_mul_f64 v[20:21], v[10:11], v[32:33]
	scratch_store_b128 off, v[30:33], off offset:1328 ; 16-byte Folded Spill
	v_fma_f64 v[28:29], v[8:9], v[30:31], -v[20:21]
	v_mul_f64 v[8:9], v[8:9], v[32:33]
	ds_load_b128 v[20:23], v94 offset:28080
	v_add_f64 v[122:123], v[24:25], -v[28:29]
	v_fma_f64 v[30:31], v[10:11], v[30:31], v[8:9]
	v_add_co_u32 v8, s29, 0xffffffd3, v167
	v_add_co_ci_u32_e64 v9, null, 0, 0, s28
	v_add_co_ci_u32_e64 v10, null, 0, -1, s29
	s_delay_alu instid0(VALU_DEP_3) | instskip(NEXT) | instid1(VALU_DEP_2)
	v_cndmask_b32_e32 v36, v8, v97, vcc_lo
	v_cndmask_b32_e32 v37, v10, v9, vcc_lo
	s_delay_alu instid0(VALU_DEP_1) | instskip(NEXT) | instid1(VALU_DEP_1)
	v_lshlrev_b64 v[8:9], 5, v[36:37]
	v_add_co_u32 v8, vcc_lo, s10, v8
	s_delay_alu instid0(VALU_DEP_2) | instskip(NEXT) | instid1(VALU_DEP_2)
	v_add_co_ci_u32_e32 v9, vcc_lo, s11, v9, vcc_lo
	v_add_co_u32 v10, vcc_lo, 0x1000, v8
	s_delay_alu instid0(VALU_DEP_2)
	v_add_co_ci_u32_e32 v11, vcc_lo, 0, v9, vcc_lo
	v_add_co_u32 v8, vcc_lo, 0x1b80, v8
	v_add_co_ci_u32_e32 v9, vcc_lo, 0, v9, vcc_lo
	global_load_b128 v[32:35], v[10:11], off offset:2944
	v_add_f64 v[120:121], v[26:27], v[30:31]
	s_waitcnt vmcnt(0) lgkmcnt(0)
	v_mul_f64 v[10:11], v[22:23], v[34:35]
	scratch_store_b128 off, v[32:35], off offset:1724 ; 16-byte Folded Spill
	v_fma_f64 v[37:38], v[20:21], v[32:33], -v[10:11]
	v_mul_f64 v[10:11], v[20:21], v[34:35]
	s_delay_alu instid0(VALU_DEP_1)
	v_fma_f64 v[39:40], v[22:23], v[32:33], v[10:11]
	global_load_b128 v[32:35], v[8:9], off offset:16
	ds_load_b128 v[8:11], v94 offset:49680
	s_waitcnt vmcnt(0) lgkmcnt(0)
	v_mul_f64 v[20:21], v[10:11], v[34:35]
	scratch_store_b128 off, v[32:35], off offset:1740 ; 16-byte Folded Spill
	v_fma_f64 v[53:54], v[8:9], v[32:33], -v[20:21]
	v_mul_f64 v[8:9], v[8:9], v[34:35]
	s_delay_alu instid0(VALU_DEP_1)
	v_fma_f64 v[61:62], v[10:11], v[32:33], v[8:9]
	v_add_co_u32 v8, vcc_lo, 0x2000, v106
	v_add_co_ci_u32_e32 v9, vcc_lo, 0, v107, vcc_lo
	global_load_b128 v[32:35], v[8:9], off offset:1728
	ds_load_b128 v[8:11], v94 offset:30240
	v_add_f64 v[124:125], v[39:40], v[61:62]
	s_waitcnt vmcnt(0) lgkmcnt(0)
	v_mul_f64 v[20:21], v[10:11], v[34:35]
	scratch_store_b128 off, v[32:35], off offset:1756 ; 16-byte Folded Spill
	v_fma_f64 v[45:46], v[8:9], v[32:33], -v[20:21]
	v_mul_f64 v[8:9], v[8:9], v[34:35]
	v_add_f64 v[34:35], v[16:17], v[18:19]
	s_delay_alu instid0(VALU_DEP_2)
	v_fma_f64 v[49:50], v[10:11], v[32:33], v[8:9]
	v_add_co_u32 v8, vcc_lo, 0x26c0, v106
	v_add_co_ci_u32_e32 v9, vcc_lo, 0, v107, vcc_lo
	v_add_f64 v[32:33], v[0:1], -v[4:5]
	global_load_b128 v[244:247], v[8:9], off offset:16
	ds_load_b128 v[8:11], v94 offset:51840
	s_waitcnt vmcnt(0) lgkmcnt(0)
	v_mul_f64 v[20:21], v[10:11], v[246:247]
	s_delay_alu instid0(VALU_DEP_1) | instskip(SKIP_1) | instid1(VALU_DEP_1)
	v_fma_f64 v[65:66], v[8:9], v[244:245], -v[20:21]
	v_mul_f64 v[8:9], v[8:9], v[246:247]
	v_fma_f64 v[67:68], v[10:11], v[244:245], v[8:9]
	v_add_co_u32 v8, vcc_lo, 0x3000, v106
	v_add_co_ci_u32_e32 v9, vcc_lo, 0, v107, vcc_lo
	global_load_b128 v[252:255], v[8:9], off offset:1952
	ds_load_b128 v[8:11], v94 offset:32400
	s_waitcnt vmcnt(0) lgkmcnt(0)
	v_mul_f64 v[20:21], v[10:11], v[254:255]
	s_delay_alu instid0(VALU_DEP_1) | instskip(SKIP_1) | instid1(VALU_DEP_1)
	v_fma_f64 v[41:42], v[8:9], v[252:253], -v[20:21]
	v_mul_f64 v[8:9], v[8:9], v[254:255]
	v_fma_f64 v[43:44], v[10:11], v[252:253], v[8:9]
	v_add_co_u32 v8, vcc_lo, 0x37a0, v106
	v_add_co_ci_u32_e32 v9, vcc_lo, 0, v107, vcc_lo
	global_load_b128 v[248:251], v[8:9], off offset:16
	ds_load_b128 v[8:11], v94 offset:54000
	s_waitcnt vmcnt(0) lgkmcnt(0)
	v_mul_f64 v[20:21], v[10:11], v[250:251]
	s_delay_alu instid0(VALU_DEP_1) | instskip(SKIP_1) | instid1(VALU_DEP_1)
	v_fma_f64 v[57:58], v[8:9], v[248:249], -v[20:21]
	v_mul_f64 v[8:9], v[8:9], v[250:251]
	v_fma_f64 v[63:64], v[10:11], v[248:249], v[8:9]
	v_and_b32_e32 v8, 0xffff, v101
	s_delay_alu instid0(VALU_DEP_1) | instskip(NEXT) | instid1(VALU_DEP_1)
	v_mul_u32_u24_e32 v8, 0x91a3, v8
	v_lshrrev_b32_e32 v110, 24, v8
	s_delay_alu instid0(VALU_DEP_1) | instskip(NEXT) | instid1(VALU_DEP_1)
	v_mul_lo_u16 v8, 0x1c2, v110
	v_sub_nc_u16 v111, v101, v8
	s_delay_alu instid0(VALU_DEP_1) | instskip(NEXT) | instid1(VALU_DEP_1)
	v_lshlrev_b16 v8, 5, v111
	v_and_b32_e32 v8, 0xffff, v8
	s_delay_alu instid0(VALU_DEP_1) | instskip(NEXT) | instid1(VALU_DEP_1)
	v_add_co_u32 v22, s28, s10, v8
	v_add_co_ci_u32_e64 v23, null, s11, 0, s28
	s_delay_alu instid0(VALU_DEP_2) | instskip(NEXT) | instid1(VALU_DEP_2)
	v_add_co_u32 v8, vcc_lo, 0x1000, v22
	v_add_co_ci_u32_e32 v9, vcc_lo, 0, v23, vcc_lo
	global_load_b128 v[240:243], v[8:9], off offset:2944
	ds_load_b128 v[8:11], v94 offset:34560
	s_waitcnt vmcnt(0) lgkmcnt(0)
	v_mul_f64 v[20:21], v[10:11], v[242:243]
	s_delay_alu instid0(VALU_DEP_1) | instskip(SKIP_1) | instid1(VALU_DEP_1)
	v_fma_f64 v[55:56], v[8:9], v[240:241], -v[20:21]
	v_mul_f64 v[8:9], v[8:9], v[242:243]
	v_fma_f64 v[59:60], v[10:11], v[240:241], v[8:9]
	v_add_co_u32 v8, vcc_lo, 0x1b80, v22
	v_add_co_ci_u32_e32 v9, vcc_lo, 0, v23, vcc_lo
	global_load_b128 v[232:235], v[8:9], off offset:16
	ds_load_b128 v[8:11], v94 offset:56160
	s_waitcnt vmcnt(0) lgkmcnt(0)
	v_mul_f64 v[20:21], v[10:11], v[234:235]
	s_delay_alu instid0(VALU_DEP_1) | instskip(SKIP_1) | instid1(VALU_DEP_1)
	v_fma_f64 v[71:72], v[8:9], v[232:233], -v[20:21]
	v_mul_f64 v[8:9], v[8:9], v[234:235]
	v_fma_f64 v[75:76], v[10:11], v[232:233], v[8:9]
	v_and_b32_e32 v8, 0xffff, v100
	s_delay_alu instid0(VALU_DEP_1) | instskip(NEXT) | instid1(VALU_DEP_1)
	v_mul_u32_u24_e32 v8, 0x91a3, v8
	v_lshrrev_b32_e32 v8, 24, v8
	s_delay_alu instid0(VALU_DEP_1) | instskip(NEXT) | instid1(VALU_DEP_1)
	v_mul_lo_u16 v8, 0x1c2, v8
	v_sub_nc_u16 v112, v100, v8
	s_delay_alu instid0(VALU_DEP_1) | instskip(NEXT) | instid1(VALU_DEP_1)
	v_lshlrev_b16 v8, 5, v112
	v_and_b32_e32 v8, 0xffff, v8
	s_delay_alu instid0(VALU_DEP_1) | instskip(NEXT) | instid1(VALU_DEP_1)
	v_add_co_u32 v22, s28, s10, v8
	v_add_co_ci_u32_e64 v23, null, s11, 0, s28
	s_delay_alu instid0(VALU_DEP_2) | instskip(NEXT) | instid1(VALU_DEP_2)
	;; [unrolled: 34-line block ×4, first 2 shown]
	v_add_co_u32 v8, vcc_lo, 0x1000, v22
	v_add_co_ci_u32_e32 v9, vcc_lo, 0, v23, vcc_lo
	global_load_b128 v[220:223], v[8:9], off offset:2944
	ds_load_b128 v[8:11], v94 offset:41040
	s_waitcnt vmcnt(0) lgkmcnt(0)
	v_mul_f64 v[20:21], v[10:11], v[222:223]
	s_delay_alu instid0(VALU_DEP_1) | instskip(SKIP_1) | instid1(VALU_DEP_1)
	v_fma_f64 v[69:70], v[8:9], v[220:221], -v[20:21]
	v_mul_f64 v[8:9], v[8:9], v[222:223]
	v_fma_f64 v[73:74], v[10:11], v[220:221], v[8:9]
	v_add_co_u32 v8, vcc_lo, 0x1b80, v22
	v_add_co_ci_u32_e32 v9, vcc_lo, 0, v23, vcc_lo
	v_add_f64 v[22:23], v[2:3], v[6:7]
	v_cmp_lt_u16_e32 vcc_lo, 44, v119
	global_load_b128 v[212:215], v[8:9], off offset:16
	ds_load_b128 v[8:11], v94 offset:62640
	s_waitcnt vmcnt(0) lgkmcnt(0)
	v_mul_f64 v[20:21], v[10:11], v[214:215]
	s_delay_alu instid0(VALU_DEP_1) | instskip(SKIP_2) | instid1(VALU_DEP_2)
	v_fma_f64 v[89:90], v[8:9], v[212:213], -v[20:21]
	v_mul_f64 v[8:9], v[8:9], v[214:215]
	v_add_f64 v[20:21], v[0:1], v[4:5]
	v_fma_f64 v[91:92], v[10:11], v[212:213], v[8:9]
	ds_load_b128 v[8:11], v94
	s_waitcnt lgkmcnt(0)
	v_fma_f64 v[20:21], v[20:21], -0.5, v[8:9]
	v_fma_f64 v[22:23], v[22:23], -0.5, v[10:11]
	v_add_f64 v[10:11], v[10:11], v[2:3]
	v_add_f64 v[8:9], v[8:9], v[0:1]
	v_add_f64 v[2:3], v[2:3], -v[6:7]
	s_delay_alu instid0(VALU_DEP_3) | instskip(NEXT) | instid1(VALU_DEP_3)
	v_add_f64 v[10:11], v[10:11], v[6:7]
	v_add_f64 v[8:9], v[8:9], v[4:5]
	s_delay_alu instid0(VALU_DEP_3)
	v_fma_f64 v[4:5], v[2:3], s[8:9], v[20:21]
	v_fma_f64 v[0:1], v[2:3], s[2:3], v[20:21]
	;; [unrolled: 1-line block ×4, first 2 shown]
	v_add_f64 v[32:33], v[12:13], v[14:15]
	ds_load_b128 v[20:23], v94 offset:2160
	s_waitcnt lgkmcnt(0)
	v_fma_f64 v[34:35], v[34:35], -0.5, v[22:23]
	v_add_f64 v[22:23], v[22:23], v[16:17]
	v_fma_f64 v[32:33], v[32:33], -0.5, v[20:21]
	v_add_f64 v[20:21], v[20:21], v[12:13]
	s_delay_alu instid0(VALU_DEP_3) | instskip(NEXT) | instid1(VALU_DEP_3)
	v_add_f64 v[22:23], v[22:23], v[18:19]
	v_fma_f64 v[16:17], v[115:116], s[8:9], v[32:33]
	s_delay_alu instid0(VALU_DEP_3) | instskip(SKIP_3) | instid1(VALU_DEP_3)
	v_add_f64 v[20:21], v[20:21], v[14:15]
	v_add_f64 v[14:15], v[12:13], -v[14:15]
	v_fma_f64 v[12:13], v[115:116], s[2:3], v[32:33]
	v_add_f64 v[115:116], v[24:25], v[28:29]
	v_fma_f64 v[18:19], v[14:15], s[2:3], v[34:35]
	v_fma_f64 v[14:15], v[14:15], s[8:9], v[34:35]
	ds_load_b128 v[32:35], v94 offset:4320
	s_waitcnt lgkmcnt(0)
	v_fma_f64 v[115:116], v[115:116], -0.5, v[32:33]
	v_fma_f64 v[120:121], v[120:121], -0.5, v[34:35]
	v_add_f64 v[34:35], v[34:35], v[26:27]
	v_add_f64 v[32:33], v[32:33], v[24:25]
	v_add_f64 v[26:27], v[26:27], -v[30:31]
	s_delay_alu instid0(VALU_DEP_3) | instskip(NEXT) | instid1(VALU_DEP_3)
	v_add_f64 v[34:35], v[34:35], v[30:31]
	v_add_f64 v[32:33], v[32:33], v[28:29]
	s_delay_alu instid0(VALU_DEP_3)
	v_fma_f64 v[28:29], v[26:27], s[8:9], v[115:116]
	v_fma_f64 v[24:25], v[26:27], s[2:3], v[115:116]
	v_add_f64 v[115:116], v[37:38], v[53:54]
	v_fma_f64 v[30:31], v[122:123], s[2:3], v[120:121]
	v_fma_f64 v[26:27], v[122:123], s[8:9], v[120:121]
	ds_load_b128 v[120:123], v94 offset:6480
	s_waitcnt lgkmcnt(0)
	v_fma_f64 v[126:127], v[124:125], -0.5, v[122:123]
	v_add_f64 v[122:123], v[122:123], v[39:40]
	v_add_f64 v[39:40], v[39:40], -v[61:62]
	v_fma_f64 v[115:116], v[115:116], -0.5, v[120:121]
	v_add_f64 v[120:121], v[120:121], v[37:38]
	s_delay_alu instid0(VALU_DEP_4) | instskip(SKIP_1) | instid1(VALU_DEP_4)
	v_add_f64 v[122:123], v[122:123], v[61:62]
	v_add_f64 v[61:62], v[49:50], v[67:68]
	v_fma_f64 v[124:125], v[39:40], s[2:3], v[115:116]
	s_delay_alu instid0(VALU_DEP_4)
	v_add_f64 v[120:121], v[120:121], v[53:54]
	v_add_f64 v[53:54], v[37:38], -v[53:54]
	v_fma_f64 v[37:38], v[39:40], s[8:9], v[115:116]
	v_add_f64 v[115:116], v[130:131], v[49:50]
	v_add_f64 v[49:50], v[49:50], -v[67:68]
	v_fma_f64 v[61:62], v[61:62], -0.5, v[130:131]
	v_fma_f64 v[39:40], v[53:54], s[2:3], v[126:127]
	v_fma_f64 v[126:127], v[53:54], s[8:9], v[126:127]
	v_add_f64 v[53:54], v[45:46], v[65:66]
	v_add_f64 v[130:131], v[115:116], v[67:68]
	v_add_f64 v[115:116], v[43:44], -v[63:64]
	s_delay_alu instid0(VALU_DEP_3) | instskip(SKIP_2) | instid1(VALU_DEP_3)
	v_fma_f64 v[53:54], v[53:54], -0.5, v[128:129]
	v_add_f64 v[128:129], v[128:129], v[45:46]
	v_add_f64 v[45:46], v[45:46], -v[65:66]
	v_fma_f64 v[132:133], v[49:50], s[2:3], v[53:54]
	s_delay_alu instid0(VALU_DEP_3) | instskip(NEXT) | instid1(VALU_DEP_3)
	v_add_f64 v[128:129], v[128:129], v[65:66]
	v_fma_f64 v[67:68], v[45:46], s[2:3], v[61:62]
	v_fma_f64 v[134:135], v[45:46], s[8:9], v[61:62]
	v_add_f64 v[45:46], v[41:42], v[57:58]
	v_fma_f64 v[65:66], v[49:50], s[8:9], v[53:54]
	v_add_f64 v[61:62], v[136:137], v[41:42]
	v_add_f64 v[41:42], v[41:42], -v[57:58]
	s_delay_alu instid0(VALU_DEP_4) | instskip(SKIP_1) | instid1(VALU_DEP_2)
	v_fma_f64 v[49:50], v[45:46], -0.5, v[136:137]
	v_add_f64 v[45:46], v[43:44], v[63:64]
	v_fma_f64 v[136:137], v[115:116], s[2:3], v[49:50]
	s_delay_alu instid0(VALU_DEP_2)
	v_fma_f64 v[53:54], v[45:46], -0.5, v[138:139]
	v_add_f64 v[45:46], v[138:139], v[43:44]
	v_add_f64 v[43:44], v[61:62], v[57:58]
	v_fma_f64 v[61:62], v[115:116], s[8:9], v[49:50]
	v_add_f64 v[49:50], v[59:60], v[75:76]
	v_add_f64 v[57:58], v[140:141], v[55:56]
	v_add_f64 v[115:116], v[59:60], -v[75:76]
	v_fma_f64 v[138:139], v[41:42], s[8:9], v[53:54]
	v_add_f64 v[45:46], v[45:46], v[63:64]
	v_fma_f64 v[63:64], v[41:42], s[2:3], v[53:54]
	v_add_f64 v[41:42], v[55:56], v[71:72]
	v_fma_f64 v[49:50], v[49:50], -0.5, v[142:143]
	v_add_f64 v[53:54], v[142:143], v[59:60]
	v_add_f64 v[57:58], v[57:58], v[71:72]
	v_add_f64 v[71:72], v[55:56], -v[71:72]
	v_fma_f64 v[41:42], v[41:42], -0.5, v[140:141]
	s_delay_alu instid0(VALU_DEP_4) | instskip(SKIP_1) | instid1(VALU_DEP_4)
	v_add_f64 v[59:60], v[53:54], v[75:76]
	v_add_f64 v[75:76], v[144:145], v[47:48]
	v_fma_f64 v[55:56], v[71:72], s[2:3], v[49:50]
	v_fma_f64 v[142:143], v[71:72], s[8:9], v[49:50]
	v_add_f64 v[49:50], v[51:52], v[83:84]
	v_fma_f64 v[53:54], v[115:116], s[8:9], v[41:42]
	v_fma_f64 v[140:141], v[115:116], s[2:3], v[41:42]
	v_add_f64 v[41:42], v[47:48], v[79:80]
	v_add_f64 v[115:116], v[51:52], -v[83:84]
	v_add_f64 v[47:48], v[47:48], -v[79:80]
	v_fma_f64 v[71:72], v[49:50], -0.5, v[146:147]
	v_add_f64 v[49:50], v[146:147], v[51:52]
	v_fma_f64 v[41:42], v[41:42], -0.5, v[144:145]
	s_delay_alu instid0(VALU_DEP_3)
	v_fma_f64 v[146:147], v[47:48], s[2:3], v[71:72]
	v_fma_f64 v[154:155], v[47:48], s[8:9], v[71:72]
	v_add_f64 v[47:48], v[81:82], v[87:88]
	v_add_f64 v[71:72], v[158:159], v[81:82]
	;; [unrolled: 1-line block ×5, first 2 shown]
	v_add_f64 v[83:84], v[81:82], -v[87:88]
	v_fma_f64 v[144:145], v[115:116], s[8:9], v[41:42]
	v_fma_f64 v[152:153], v[115:116], s[2:3], v[41:42]
	v_add_f64 v[41:42], v[77:78], v[85:86]
	v_add_f64 v[115:116], v[73:74], -v[91:92]
	v_fma_f64 v[47:48], v[47:48], -0.5, v[158:159]
	v_add_f64 v[81:82], v[71:72], v[87:88]
	v_add_f64 v[71:72], v[77:78], -v[85:86]
	v_add_f64 v[79:80], v[75:76], v[85:86]
	v_fma_f64 v[41:42], v[41:42], -0.5, v[156:157]
	ds_load_b128 v[156:159], v94 offset:19440
	s_waitcnt lgkmcnt(0)
	s_waitcnt_vscnt null, 0x0
	s_barrier
	buffer_gl0_inv
	ds_store_b128 v94, v[8:11]
	ds_store_b128 v94, v[20:23] offset:2160
	ds_store_b128 v94, v[32:35] offset:4320
	ds_store_b128 v94, v[4:7] offset:7200
	ds_store_b128 v94, v[0:3] offset:14400
	ds_store_b128 v94, v[16:19] offset:9360
	ds_store_b128 v94, v[12:15] offset:16560
	ds_store_b128 v94, v[28:31] offset:11520
	ds_store_b128 v94, v[24:27] offset:18720
	v_fma_f64 v[77:78], v[71:72], s[2:3], v[47:48]
	v_fma_f64 v[85:86], v[71:72], s[8:9], v[47:48]
	v_add_f64 v[47:48], v[73:74], v[91:92]
	v_cndmask_b32_e64 v0, 0, 0x546, vcc_lo
	s_delay_alu instid0(VALU_DEP_1)
	v_add_lshl_u32 v0, v36, v0, 4
	scratch_store_b32 off, v0, off offset:1784 ; 4-byte Folded Spill
	ds_store_b128 v0, v[120:123]
	ds_store_b128 v0, v[37:40] offset:7200
	ds_store_b128 v0, v[124:127] offset:14400
	;; [unrolled: 1-line block ×8, first 2 shown]
	v_add_f64 v[71:72], v[158:159], v[73:74]
	v_add_f64 v[87:88], v[156:157], v[69:70]
	v_mad_u16 v0, 0x546, v110, v111
	s_delay_alu instid0(VALU_DEP_1) | instskip(NEXT) | instid1(VALU_DEP_1)
	v_and_b32_e32 v0, 0xffff, v0
	v_lshlrev_b32_e32 v0, 4, v0
	v_fma_f64 v[75:76], v[83:84], s[8:9], v[41:42]
	v_fma_f64 v[83:84], v[83:84], s[2:3], v[41:42]
	v_add_f64 v[41:42], v[69:70], v[89:90]
	v_add_f64 v[69:70], v[69:70], -v[89:90]
	scratch_store_b32 off, v0, off offset:1780 ; 4-byte Folded Spill
	ds_store_b128 v0, v[57:60]
	ds_store_b128 v0, v[53:56] offset:7200
	ds_store_b128 v0, v[140:143] offset:14400
	v_and_b32_e32 v0, 0xffff, v112
	v_fma_f64 v[47:48], v[47:48], -0.5, v[158:159]
	s_delay_alu instid0(VALU_DEP_2)
	v_lshlrev_b32_e32 v0, 4, v0
	scratch_store_b32 off, v0, off offset:1776 ; 4-byte Folded Spill
	ds_store_b128 v0, v[49:52] offset:43200
	ds_store_b128 v0, v[144:147] offset:50400
	;; [unrolled: 1-line block ×3, first 2 shown]
	v_and_b32_e32 v0, 0xffff, v113
	v_add_f64 v[73:74], v[71:72], v[91:92]
	v_add_f64 v[71:72], v[87:88], v[89:90]
	s_delay_alu instid0(VALU_DEP_3)
	v_lshlrev_b32_e32 v0, 4, v0
	scratch_store_b32 off, v0, off offset:1772 ; 4-byte Folded Spill
	ds_store_b128 v0, v[79:82] offset:43200
	ds_store_b128 v0, v[75:78] offset:50400
	;; [unrolled: 1-line block ×3, first 2 shown]
	v_and_b32_e32 v0, 0xffff, v114
	v_fma_f64 v[41:42], v[41:42], -0.5, v[156:157]
	s_delay_alu instid0(VALU_DEP_2) | instskip(SKIP_2) | instid1(VALU_DEP_4)
	v_lshlrev_b32_e32 v0, 4, v0
	v_fma_f64 v[89:90], v[69:70], s[2:3], v[47:48]
	v_fma_f64 v[158:159], v[69:70], s[8:9], v[47:48]
	;; [unrolled: 1-line block ×4, first 2 shown]
	ds_store_b128 v0, v[71:74] offset:43200
	ds_store_b128 v0, v[87:90] offset:50400
	;; [unrolled: 1-line block ×3, first 2 shown]
	v_mov_b32_e32 v159, v0
	v_add_co_u32 v0, vcc_lo, 0x5000, v106
	v_add_co_ci_u32_e32 v1, vcc_lo, 0, v107, vcc_lo
	s_waitcnt lgkmcnt(0)
	s_waitcnt_vscnt null, 0x0
	s_barrier
	buffer_gl0_inv
	global_load_b128 v[151:154], v[0:1], off offset:960
	ds_load_b128 v[2:5], v94 offset:21600
	ds_load_b128 v[10:13], v94 offset:23760
	;; [unrolled: 1-line block ×9, first 2 shown]
	s_waitcnt vmcnt(0) lgkmcnt(8)
	v_mul_f64 v[0:1], v[4:5], v[153:154]
	s_delay_alu instid0(VALU_DEP_1) | instskip(SKIP_1) | instid1(VALU_DEP_1)
	v_fma_f64 v[0:1], v[2:3], v[151:152], -v[0:1]
	v_mul_f64 v[2:3], v[2:3], v[153:154]
	v_fma_f64 v[2:3], v[4:5], v[151:152], v[2:3]
	v_add_co_u32 v4, vcc_lo, 0x53c0, v106
	v_add_co_ci_u32_e32 v5, vcc_lo, 0, v107, vcc_lo
	global_load_b128 v[143:146], v[4:5], off offset:16
	s_waitcnt vmcnt(0) lgkmcnt(6)
	v_mul_f64 v[4:5], v[8:9], v[145:146]
	s_delay_alu instid0(VALU_DEP_1) | instskip(SKIP_1) | instid1(VALU_DEP_1)
	v_fma_f64 v[4:5], v[6:7], v[143:144], -v[4:5]
	v_mul_f64 v[6:7], v[6:7], v[145:146]
	v_fma_f64 v[6:7], v[8:9], v[143:144], v[6:7]
	v_add_co_u32 v8, vcc_lo, 0x5000, v104
	v_add_co_ci_u32_e32 v9, vcc_lo, 0, v105, vcc_lo
	global_load_b128 v[208:211], v[8:9], off offset:960
	s_waitcnt vmcnt(0)
	v_mul_f64 v[8:9], v[12:13], v[210:211]
	s_delay_alu instid0(VALU_DEP_1) | instskip(SKIP_1) | instid1(VALU_DEP_1)
	v_fma_f64 v[8:9], v[10:11], v[208:209], -v[8:9]
	v_mul_f64 v[10:11], v[10:11], v[210:211]
	v_fma_f64 v[10:11], v[12:13], v[208:209], v[10:11]
	v_add_co_u32 v12, vcc_lo, 0x53c0, v104
	v_add_co_ci_u32_e32 v13, vcc_lo, 0, v105, vcc_lo
	ds_load_b128 v[104:107], v94 offset:10800
	global_load_b128 v[204:207], v[12:13], off offset:16
	s_waitcnt vmcnt(0) lgkmcnt(6)
	v_mul_f64 v[12:13], v[16:17], v[206:207]
	s_delay_alu instid0(VALU_DEP_1) | instskip(SKIP_1) | instid1(VALU_DEP_1)
	v_fma_f64 v[12:13], v[14:15], v[204:205], -v[12:13]
	v_mul_f64 v[14:15], v[14:15], v[206:207]
	v_fma_f64 v[14:15], v[16:17], v[204:205], v[14:15]
	v_add_co_u32 v16, vcc_lo, 0x5000, v102
	v_add_co_ci_u32_e32 v17, vcc_lo, 0, v103, vcc_lo
	global_load_b128 v[200:203], v[16:17], off offset:960
	s_waitcnt vmcnt(0) lgkmcnt(5)
	v_mul_f64 v[16:17], v[20:21], v[202:203]
	s_delay_alu instid0(VALU_DEP_1) | instskip(SKIP_1) | instid1(VALU_DEP_1)
	v_fma_f64 v[16:17], v[18:19], v[200:201], -v[16:17]
	v_mul_f64 v[18:19], v[18:19], v[202:203]
	v_fma_f64 v[18:19], v[20:21], v[200:201], v[18:19]
	v_add_co_u32 v20, vcc_lo, 0x53c0, v102
	v_add_co_ci_u32_e32 v21, vcc_lo, 0, v103, vcc_lo
	global_load_b128 v[188:191], v[20:21], off offset:16
	s_waitcnt vmcnt(0) lgkmcnt(4)
	v_mul_f64 v[20:21], v[24:25], v[190:191]
	s_delay_alu instid0(VALU_DEP_1) | instskip(SKIP_1) | instid1(VALU_DEP_1)
	v_fma_f64 v[20:21], v[22:23], v[188:189], -v[20:21]
	v_mul_f64 v[22:23], v[22:23], v[190:191]
	v_fma_f64 v[22:23], v[24:25], v[188:189], v[22:23]
	v_lshlrev_b32_e32 v24, 5, v97
	s_delay_alu instid0(VALU_DEP_1) | instskip(NEXT) | instid1(VALU_DEP_1)
	v_add_co_u32 v32, s28, s10, v24
	v_add_co_ci_u32_e64 v33, null, s11, 0, s28
	s_delay_alu instid0(VALU_DEP_2) | instskip(NEXT) | instid1(VALU_DEP_2)
	v_add_co_u32 v24, vcc_lo, 0x5000, v32
	v_add_co_ci_u32_e32 v25, vcc_lo, 0, v33, vcc_lo
	global_load_b128 v[192:195], v[24:25], off offset:960
	ds_load_b128 v[24:27], v94 offset:28080
	s_waitcnt vmcnt(0) lgkmcnt(0)
	v_mul_f64 v[28:29], v[26:27], v[194:195]
	s_delay_alu instid0(VALU_DEP_1) | instskip(SKIP_1) | instid1(VALU_DEP_1)
	v_fma_f64 v[28:29], v[24:25], v[192:193], -v[28:29]
	v_mul_f64 v[24:25], v[24:25], v[194:195]
	v_fma_f64 v[30:31], v[26:27], v[192:193], v[24:25]
	v_add_co_u32 v24, vcc_lo, 0x53c0, v32
	v_add_co_ci_u32_e32 v25, vcc_lo, 0, v33, vcc_lo
	global_load_b128 v[196:199], v[24:25], off offset:16
	ds_load_b128 v[24:27], v94 offset:49680
	s_waitcnt vmcnt(0) lgkmcnt(0)
	v_mul_f64 v[32:33], v[26:27], v[198:199]
	s_delay_alu instid0(VALU_DEP_1) | instskip(SKIP_1) | instid1(VALU_DEP_1)
	v_fma_f64 v[32:33], v[24:25], v[196:197], -v[32:33]
	v_mul_f64 v[24:25], v[24:25], v[198:199]
	v_fma_f64 v[34:35], v[26:27], v[196:197], v[24:25]
	v_lshlrev_b32_e32 v24, 5, v96
	s_delay_alu instid0(VALU_DEP_1) | instskip(NEXT) | instid1(VALU_DEP_1)
	v_add_co_u32 v38, s28, s10, v24
	v_add_co_ci_u32_e64 v39, null, s11, 0, s28
	s_delay_alu instid0(VALU_DEP_2) | instskip(NEXT) | instid1(VALU_DEP_2)
	v_add_co_u32 v24, vcc_lo, 0x5000, v38
	v_add_co_ci_u32_e32 v25, vcc_lo, 0, v39, vcc_lo
	global_load_b128 v[184:187], v[24:25], off offset:960
	ds_load_b128 v[24:27], v94 offset:30240
	s_waitcnt vmcnt(0) lgkmcnt(0)
	v_mul_f64 v[36:37], v[26:27], v[186:187]
	s_delay_alu instid0(VALU_DEP_1) | instskip(SKIP_1) | instid1(VALU_DEP_1)
	v_fma_f64 v[44:45], v[24:25], v[184:185], -v[36:37]
	v_mul_f64 v[24:25], v[24:25], v[186:187]
	v_fma_f64 v[46:47], v[26:27], v[184:185], v[24:25]
	v_add_co_u32 v24, vcc_lo, 0x53c0, v38
	v_add_co_ci_u32_e32 v25, vcc_lo, 0, v39, vcc_lo
	global_load_b128 v[172:175], v[24:25], off offset:16
	ds_load_b128 v[24:27], v94 offset:51840
	;; [unrolled: 25-line block ×4, first 2 shown]
	s_waitcnt vmcnt(0) lgkmcnt(0)
	v_mul_f64 v[36:37], v[26:27], v[157:158]
	s_delay_alu instid0(VALU_DEP_1) | instskip(SKIP_1) | instid1(VALU_DEP_1)
	v_fma_f64 v[80:81], v[24:25], v[155:156], -v[36:37]
	v_mul_f64 v[24:25], v[24:25], v[157:158]
	v_fma_f64 v[82:83], v[26:27], v[155:156], v[24:25]
	v_lshlrev_b32_e32 v24, 5, v100
	ds_load_b128 v[100:103], v94 offset:8640
	v_add_co_u32 v38, s28, s10, v24
	s_delay_alu instid0(VALU_DEP_1) | instskip(NEXT) | instid1(VALU_DEP_2)
	v_add_co_ci_u32_e64 v39, null, s11, 0, s28
	v_add_co_u32 v24, vcc_lo, 0x5000, v38
	s_delay_alu instid0(VALU_DEP_2)
	v_add_co_ci_u32_e32 v25, vcc_lo, 0, v39, vcc_lo
	global_load_b128 v[160:163], v[24:25], off offset:960
	ds_load_b128 v[24:27], v94 offset:36720
	v_add_f64 v[60:61], v[66:67], -v[82:83]
	s_waitcnt vmcnt(0) lgkmcnt(0)
	v_mul_f64 v[36:37], v[26:27], v[162:163]
	s_delay_alu instid0(VALU_DEP_1) | instskip(SKIP_1) | instid1(VALU_DEP_1)
	v_fma_f64 v[56:57], v[24:25], v[160:161], -v[36:37]
	v_mul_f64 v[24:25], v[24:25], v[162:163]
	v_fma_f64 v[58:59], v[26:27], v[160:161], v[24:25]
	v_add_co_u32 v24, vcc_lo, 0x53c0, v38
	v_add_co_ci_u32_e32 v25, vcc_lo, 0, v39, vcc_lo
	global_load_b128 v[164:167], v[24:25], off offset:16
	ds_load_b128 v[24:27], v94 offset:58320
	s_waitcnt vmcnt(0) lgkmcnt(0)
	v_mul_f64 v[36:37], v[26:27], v[166:167]
	s_delay_alu instid0(VALU_DEP_1) | instskip(SKIP_1) | instid1(VALU_DEP_1)
	v_fma_f64 v[76:77], v[24:25], v[164:165], -v[36:37]
	v_mul_f64 v[24:25], v[24:25], v[166:167]
	v_fma_f64 v[78:79], v[26:27], v[164:165], v[24:25]
	v_lshlrev_b32_e32 v24, 5, v99
	s_delay_alu instid0(VALU_DEP_1) | instskip(NEXT) | instid1(VALU_DEP_1)
	v_add_co_u32 v38, s28, s10, v24
	v_add_co_ci_u32_e64 v39, null, s11, 0, s28
	s_delay_alu instid0(VALU_DEP_2) | instskip(NEXT) | instid1(VALU_DEP_2)
	v_add_co_u32 v24, vcc_lo, 0x5000, v38
	v_add_co_ci_u32_e32 v25, vcc_lo, 0, v39, vcc_lo
	global_load_b128 v[147:150], v[24:25], off offset:960
	ds_load_b128 v[24:27], v94 offset:38880
	s_waitcnt vmcnt(0) lgkmcnt(0)
	v_mul_f64 v[36:37], v[26:27], v[149:150]
	s_delay_alu instid0(VALU_DEP_1) | instskip(SKIP_1) | instid1(VALU_DEP_1)
	v_fma_f64 v[70:71], v[24:25], v[147:148], -v[36:37]
	v_mul_f64 v[24:25], v[24:25], v[149:150]
	v_fma_f64 v[74:75], v[26:27], v[147:148], v[24:25]
	v_add_co_u32 v24, vcc_lo, 0x53c0, v38
	v_add_co_ci_u32_e32 v25, vcc_lo, 0, v39, vcc_lo
	global_load_b128 v[131:134], v[24:25], off offset:16
	ds_load_b128 v[24:27], v94 offset:60480
	s_waitcnt vmcnt(0) lgkmcnt(0)
	v_mul_f64 v[36:37], v[26:27], v[133:134]
	s_delay_alu instid0(VALU_DEP_1) | instskip(SKIP_1) | instid1(VALU_DEP_1)
	v_fma_f64 v[88:89], v[24:25], v[131:132], -v[36:37]
	v_mul_f64 v[24:25], v[24:25], v[133:134]
	v_fma_f64 v[90:91], v[26:27], v[131:132], v[24:25]
	v_lshlrev_b32_e32 v24, 5, v98
	ds_load_b128 v[96:99], v94 offset:6480
	v_add_co_u32 v38, s10, s10, v24
	s_delay_alu instid0(VALU_DEP_1) | instskip(NEXT) | instid1(VALU_DEP_2)
	v_add_co_ci_u32_e64 v39, null, s11, 0, s10
	v_add_co_u32 v24, vcc_lo, 0x5000, v38
	s_delay_alu instid0(VALU_DEP_2) | instskip(SKIP_4) | instid1(VALU_DEP_1)
	v_add_co_ci_u32_e32 v25, vcc_lo, 0, v39, vcc_lo
	global_load_b128 v[139:142], v[24:25], off offset:960
	ds_load_b128 v[24:27], v94 offset:41040
	s_waitcnt vmcnt(0) lgkmcnt(0)
	v_mul_f64 v[36:37], v[26:27], v[141:142]
	v_fma_f64 v[92:93], v[24:25], v[139:140], -v[36:37]
	v_mul_f64 v[24:25], v[24:25], v[141:142]
	s_delay_alu instid0(VALU_DEP_1)
	v_fma_f64 v[64:65], v[26:27], v[139:140], v[24:25]
	v_add_co_u32 v24, vcc_lo, 0x53c0, v38
	v_add_co_ci_u32_e32 v25, vcc_lo, 0, v39, vcc_lo
	v_add_f64 v[38:39], v[2:3], v[6:7]
	global_load_b128 v[135:138], v[24:25], off offset:16
	ds_load_b128 v[24:27], v94 offset:62640
	s_waitcnt vmcnt(0) lgkmcnt(0)
	v_mul_f64 v[36:37], v[26:27], v[137:138]
	s_delay_alu instid0(VALU_DEP_1) | instskip(SKIP_2) | instid1(VALU_DEP_2)
	v_fma_f64 v[84:85], v[24:25], v[135:136], -v[36:37]
	v_mul_f64 v[24:25], v[24:25], v[137:138]
	v_add_f64 v[36:37], v[0:1], v[4:5]
	v_fma_f64 v[86:87], v[26:27], v[135:136], v[24:25]
	ds_load_b128 v[24:27], v94
	s_waitcnt lgkmcnt(0)
	v_fma_f64 v[36:37], v[36:37], -0.5, v[24:25]
	v_fma_f64 v[38:39], v[38:39], -0.5, v[26:27]
	v_add_f64 v[26:27], v[26:27], v[2:3]
	v_add_f64 v[24:25], v[24:25], v[0:1]
	v_add_f64 v[2:3], v[2:3], -v[6:7]
	v_add_f64 v[0:1], v[0:1], -v[4:5]
	s_delay_alu instid0(VALU_DEP_4) | instskip(NEXT) | instid1(VALU_DEP_4)
	v_add_f64 v[26:27], v[26:27], v[6:7]
	v_add_f64 v[24:25], v[24:25], v[4:5]
	s_delay_alu instid0(VALU_DEP_4)
	v_fma_f64 v[127:128], v[2:3], s[8:9], v[36:37]
	v_fma_f64 v[123:124], v[2:3], s[2:3], v[36:37]
	;; [unrolled: 1-line block ×4, first 2 shown]
	ds_load_b128 v[36:39], v94 offset:2160
	v_add_f64 v[0:1], v[8:9], v[12:13]
	v_add_f64 v[2:3], v[10:11], v[14:15]
	s_waitcnt lgkmcnt(0)
	v_add_f64 v[4:5], v[38:39], v[10:11]
	v_add_f64 v[6:7], v[36:37], v[8:9]
	v_add_f64 v[10:11], v[10:11], -v[14:15]
	v_fma_f64 v[0:1], v[0:1], -0.5, v[36:37]
	v_fma_f64 v[2:3], v[2:3], -0.5, v[38:39]
	v_add_f64 v[38:39], v[4:5], v[14:15]
	v_add_f64 v[4:5], v[8:9], -v[12:13]
	v_add_f64 v[36:37], v[6:7], v[12:13]
	v_add_f64 v[6:7], v[40:41], v[16:17]
	v_fma_f64 v[12:13], v[10:11], s[8:9], v[0:1]
	v_fma_f64 v[8:9], v[10:11], s[2:3], v[0:1]
	v_add_f64 v[0:1], v[16:17], v[20:21]
	v_fma_f64 v[14:15], v[4:5], s[2:3], v[2:3]
	v_fma_f64 v[10:11], v[4:5], s[8:9], v[2:3]
	v_add_f64 v[2:3], v[18:19], v[22:23]
	v_add_f64 v[4:5], v[42:43], v[18:19]
	v_add_f64 v[18:19], v[18:19], -v[22:23]
	v_fma_f64 v[0:1], v[0:1], -0.5, v[40:41]
	v_add_f64 v[40:41], v[6:7], v[20:21]
	v_add_f64 v[6:7], v[96:97], v[28:29]
	v_fma_f64 v[2:3], v[2:3], -0.5, v[42:43]
	v_add_f64 v[42:43], v[4:5], v[22:23]
	v_add_f64 v[4:5], v[16:17], -v[20:21]
	v_fma_f64 v[20:21], v[18:19], s[8:9], v[0:1]
	v_fma_f64 v[16:17], v[18:19], s[2:3], v[0:1]
	v_add_f64 v[0:1], v[28:29], v[32:33]
	s_delay_alu instid0(VALU_DEP_4)
	v_fma_f64 v[22:23], v[4:5], s[2:3], v[2:3]
	v_fma_f64 v[18:19], v[4:5], s[8:9], v[2:3]
	v_add_f64 v[2:3], v[30:31], v[34:35]
	v_add_f64 v[4:5], v[98:99], v[30:31]
	v_add_f64 v[30:31], v[30:31], -v[34:35]
	v_fma_f64 v[0:1], v[0:1], -0.5, v[96:97]
	v_add_f64 v[96:97], v[6:7], v[32:33]
	v_add_f64 v[6:7], v[100:101], v[44:45]
	v_fma_f64 v[2:3], v[2:3], -0.5, v[98:99]
	v_add_f64 v[98:99], v[4:5], v[34:35]
	v_add_f64 v[4:5], v[28:29], -v[32:33]
	v_fma_f64 v[32:33], v[30:31], s[8:9], v[0:1]
	v_fma_f64 v[28:29], v[30:31], s[2:3], v[0:1]
	v_add_f64 v[0:1], v[44:45], v[48:49]
	s_delay_alu instid0(VALU_DEP_4)
	;; [unrolled: 15-line block ×3, first 2 shown]
	v_fma_f64 v[50:51], v[4:5], s[2:3], v[2:3]
	v_fma_f64 v[46:47], v[4:5], s[8:9], v[2:3]
	v_add_f64 v[2:3], v[54:55], v[72:73]
	v_add_f64 v[4:5], v[106:107], v[54:55]
	v_add_f64 v[54:55], v[54:55], -v[72:73]
	v_fma_f64 v[0:1], v[0:1], -0.5, v[104:105]
	v_add_f64 v[104:105], v[6:7], v[68:69]
	v_add_f64 v[6:7], v[114:115], v[62:63]
	v_fma_f64 v[2:3], v[2:3], -0.5, v[106:107]
	v_add_f64 v[106:107], v[4:5], v[72:73]
	v_add_f64 v[4:5], v[52:53], -v[68:69]
	v_add_f64 v[72:73], v[74:75], -v[90:91]
	v_fma_f64 v[52:53], v[54:55], s[8:9], v[0:1]
	v_fma_f64 v[110:111], v[54:55], s[2:3], v[0:1]
	v_add_f64 v[0:1], v[62:63], v[80:81]
	v_fma_f64 v[54:55], v[4:5], s[2:3], v[2:3]
	v_fma_f64 v[112:113], v[4:5], s[8:9], v[2:3]
	v_add_f64 v[2:3], v[66:67], v[82:83]
	v_add_f64 v[4:5], v[116:117], v[66:67]
	;; [unrolled: 1-line block ×4, first 2 shown]
	v_fma_f64 v[0:1], v[0:1], -0.5, v[114:115]
	v_fma_f64 v[2:3], v[2:3], -0.5, v[116:117]
	v_add_f64 v[68:69], v[4:5], v[82:83]
	v_add_f64 v[4:5], v[62:63], -v[80:81]
	s_delay_alu instid0(VALU_DEP_4) | instskip(SKIP_2) | instid1(VALU_DEP_4)
	v_fma_f64 v[80:81], v[60:61], s[8:9], v[0:1]
	v_fma_f64 v[114:115], v[60:61], s[2:3], v[0:1]
	v_add_f64 v[0:1], v[56:57], v[76:77]
	v_fma_f64 v[82:83], v[4:5], s[2:3], v[2:3]
	v_fma_f64 v[116:117], v[4:5], s[8:9], v[2:3]
	v_add_f64 v[2:3], v[58:59], v[78:79]
	v_add_f64 v[4:5], v[121:122], v[58:59]
	v_add_f64 v[58:59], v[58:59], -v[78:79]
	v_fma_f64 v[0:1], v[0:1], -0.5, v[119:120]
	v_add_f64 v[119:120], v[6:7], v[76:77]
	v_fma_f64 v[2:3], v[2:3], -0.5, v[121:122]
	v_add_f64 v[121:122], v[4:5], v[78:79]
	v_add_f64 v[4:5], v[56:57], -v[76:77]
	v_fma_f64 v[56:57], v[58:59], s[8:9], v[0:1]
	v_fma_f64 v[76:77], v[58:59], s[2:3], v[0:1]
	s_delay_alu instid0(VALU_DEP_3)
	v_fma_f64 v[58:59], v[4:5], s[2:3], v[2:3]
	v_fma_f64 v[78:79], v[4:5], s[8:9], v[2:3]
	v_add_f64 v[4:5], v[70:71], v[88:89]
	ds_load_b128 v[0:3], v94 offset:17280
	s_waitcnt lgkmcnt(0)
	v_fma_f64 v[60:61], v[4:5], -0.5, v[0:1]
	v_add_f64 v[4:5], v[74:75], v[90:91]
	v_add_f64 v[0:1], v[0:1], v[70:71]
	s_delay_alu instid0(VALU_DEP_2) | instskip(SKIP_1) | instid1(VALU_DEP_3)
	v_fma_f64 v[62:63], v[4:5], -0.5, v[2:3]
	v_add_f64 v[2:3], v[2:3], v[74:75]
	v_add_f64 v[4:5], v[0:1], v[88:89]
	v_add_f64 v[0:1], v[70:71], -v[88:89]
	v_fma_f64 v[70:71], v[72:73], s[8:9], v[60:61]
	v_fma_f64 v[88:89], v[72:73], s[2:3], v[60:61]
	v_add_f64 v[74:75], v[92:93], -v[84:85]
	v_add_f64 v[6:7], v[2:3], v[90:91]
	v_add_f64 v[2:3], v[64:65], v[86:87]
	v_fma_f64 v[72:73], v[0:1], s[2:3], v[62:63]
	v_fma_f64 v[90:91], v[0:1], s[8:9], v[62:63]
	v_add_f64 v[0:1], v[92:93], v[84:85]
	ds_load_b128 v[60:63], v94 offset:19440
	s_waitcnt lgkmcnt(0)
	v_fma_f64 v[2:3], v[2:3], -0.5, v[62:63]
	v_add_f64 v[62:63], v[62:63], v[64:65]
	v_add_f64 v[64:65], v[64:65], -v[86:87]
	v_fma_f64 v[0:1], v[0:1], -0.5, v[60:61]
	v_add_f64 v[60:61], v[60:61], v[92:93]
	s_delay_alu instid0(VALU_DEP_4) | instskip(SKIP_2) | instid1(VALU_DEP_4)
	v_add_f64 v[62:63], v[62:63], v[86:87]
	v_fma_f64 v[86:87], v[74:75], s[2:3], v[2:3]
	v_fma_f64 v[2:3], v[74:75], s[8:9], v[2:3]
	v_add_f64 v[60:61], v[60:61], v[84:85]
	v_fma_f64 v[84:85], v[64:65], s[8:9], v[0:1]
	v_fma_f64 v[0:1], v[64:65], s[2:3], v[0:1]
	ds_store_b128 v94, v[24:27]
	ds_store_b128 v94, v[36:39] offset:2160
	ds_store_b128 v94, v[40:43] offset:4320
	;; [unrolled: 1-line block ×29, first 2 shown]
	s_waitcnt lgkmcnt(0)
	s_barrier
	buffer_gl0_inv
	global_load_b128 v[0:3], v[108:109], off offset:3360
	ds_load_b128 v[4:7], v94
	ds_load_b128 v[50:53], v94 offset:8640
	ds_load_b128 v[54:57], v94 offset:15120
	;; [unrolled: 1-line block ×6, first 2 shown]
	s_waitcnt vmcnt(0) lgkmcnt(6)
	v_mul_f64 v[8:9], v[6:7], v[2:3]
	v_mul_f64 v[2:3], v[4:5], v[2:3]
	s_delay_alu instid0(VALU_DEP_2) | instskip(NEXT) | instid1(VALU_DEP_2)
	v_fma_f64 v[76:77], v[4:5], v[0:1], -v[8:9]
	v_fma_f64 v[78:79], v[6:7], v[0:1], v[2:3]
	v_add_co_u32 v0, vcc_lo, 0x11000, v95
	v_add_co_ci_u32_e32 v1, vcc_lo, 0, v118, vcc_lo
	ds_load_b128 v[6:9], v94 offset:6480
	v_add_co_u32 v84, vcc_lo, 0x12000, v95
	global_load_b128 v[2:5], v[0:1], off offset:1648
	v_add_co_ci_u32_e32 v85, vcc_lo, 0, v118, vcc_lo
	v_add_co_u32 v88, vcc_lo, 0x14000, v95
	v_add_co_ci_u32_e32 v89, vcc_lo, 0, v118, vcc_lo
	s_waitcnt vmcnt(0) lgkmcnt(0)
	v_mul_f64 v[10:11], v[8:9], v[4:5]
	v_mul_f64 v[4:5], v[6:7], v[4:5]
	s_delay_alu instid0(VALU_DEP_2) | instskip(NEXT) | instid1(VALU_DEP_2)
	v_fma_f64 v[40:41], v[6:7], v[2:3], -v[10:11]
	v_fma_f64 v[42:43], v[8:9], v[2:3], v[4:5]
	global_load_b128 v[2:5], v[84:85], off offset:4032
	ds_load_b128 v[6:9], v94 offset:12960
	s_waitcnt vmcnt(0) lgkmcnt(0)
	v_mul_f64 v[10:11], v[8:9], v[4:5]
	v_mul_f64 v[4:5], v[6:7], v[4:5]
	s_delay_alu instid0(VALU_DEP_2) | instskip(NEXT) | instid1(VALU_DEP_2)
	v_fma_f64 v[36:37], v[6:7], v[2:3], -v[10:11]
	v_fma_f64 v[38:39], v[8:9], v[2:3], v[4:5]
	global_load_b128 v[2:5], v[88:89], off offset:2320
	ds_load_b128 v[6:9], v94 offset:19440
	s_waitcnt vmcnt(0) lgkmcnt(0)
	v_mul_f64 v[10:11], v[8:9], v[4:5]
	v_mul_f64 v[4:5], v[6:7], v[4:5]
	s_delay_alu instid0(VALU_DEP_2) | instskip(NEXT) | instid1(VALU_DEP_2)
	v_fma_f64 v[32:33], v[6:7], v[2:3], -v[10:11]
	v_fma_f64 v[34:35], v[8:9], v[2:3], v[4:5]
	v_add_co_u32 v2, vcc_lo, 0x16000, v95
	v_add_co_ci_u32_e32 v3, vcc_lo, 0, v118, vcc_lo
	ds_load_b128 v[8:11], v94 offset:25920
	v_add_co_u32 v96, vcc_lo, 0x17000, v95
	global_load_b128 v[4:7], v[2:3], off offset:608
	v_add_co_ci_u32_e32 v97, vcc_lo, 0, v118, vcc_lo
	v_add_co_u32 v64, vcc_lo, 0x19000, v95
	v_add_co_ci_u32_e32 v65, vcc_lo, 0, v118, vcc_lo
	v_add_co_u32 v104, vcc_lo, 0x1a000, v95
	v_add_co_ci_u32_e32 v105, vcc_lo, 0, v118, vcc_lo
	s_waitcnt vmcnt(0) lgkmcnt(0)
	v_mul_f64 v[12:13], v[10:11], v[6:7]
	v_mul_f64 v[6:7], v[8:9], v[6:7]
	s_delay_alu instid0(VALU_DEP_2) | instskip(NEXT) | instid1(VALU_DEP_2)
	v_fma_f64 v[28:29], v[8:9], v[4:5], -v[12:13]
	v_fma_f64 v[30:31], v[10:11], v[4:5], v[6:7]
	global_load_b128 v[4:7], v[96:97], off offset:2992
	ds_load_b128 v[8:11], v94 offset:32400
	s_waitcnt vmcnt(0) lgkmcnt(0)
	v_mul_f64 v[12:13], v[10:11], v[6:7]
	v_mul_f64 v[6:7], v[8:9], v[6:7]
	s_delay_alu instid0(VALU_DEP_2) | instskip(NEXT) | instid1(VALU_DEP_2)
	v_fma_f64 v[24:25], v[8:9], v[4:5], -v[12:13]
	v_fma_f64 v[26:27], v[10:11], v[4:5], v[6:7]
	global_load_b128 v[4:7], v[64:65], off offset:1280
	ds_load_b128 v[8:11], v94 offset:38880
	;; [unrolled: 8-line block ×3, first 2 shown]
	s_waitcnt vmcnt(0) lgkmcnt(0)
	v_mul_f64 v[12:13], v[10:11], v[6:7]
	v_mul_f64 v[6:7], v[8:9], v[6:7]
	s_delay_alu instid0(VALU_DEP_2) | instskip(NEXT) | instid1(VALU_DEP_2)
	v_fma_f64 v[16:17], v[8:9], v[4:5], -v[12:13]
	v_fma_f64 v[18:19], v[10:11], v[4:5], v[6:7]
	v_add_co_u32 v4, vcc_lo, 0x1c000, v95
	v_add_co_ci_u32_e32 v5, vcc_lo, 0, v118, vcc_lo
	ds_load_b128 v[8:11], v94 offset:51840
	v_add_co_u32 v80, vcc_lo, 0x1e000, v95
	global_load_b128 v[4:7], v[4:5], off offset:1952
	v_add_co_ci_u32_e32 v81, vcc_lo, 0, v118, vcc_lo
	s_waitcnt vmcnt(0) lgkmcnt(0)
	v_mul_f64 v[12:13], v[10:11], v[6:7]
	v_mul_f64 v[6:7], v[8:9], v[6:7]
	s_delay_alu instid0(VALU_DEP_2) | instskip(NEXT) | instid1(VALU_DEP_2)
	v_fma_f64 v[12:13], v[8:9], v[4:5], -v[12:13]
	v_fma_f64 v[14:15], v[10:11], v[4:5], v[6:7]
	global_load_b128 v[4:7], v[80:81], off offset:240
	ds_load_b128 v[8:11], v94 offset:58320
	s_waitcnt vmcnt(0) lgkmcnt(0)
	v_mul_f64 v[44:45], v[10:11], v[6:7]
	v_mul_f64 v[6:7], v[8:9], v[6:7]
	s_delay_alu instid0(VALU_DEP_2) | instskip(NEXT) | instid1(VALU_DEP_2)
	v_fma_f64 v[8:9], v[8:9], v[4:5], -v[44:45]
	v_fma_f64 v[10:11], v[10:11], v[4:5], v[6:7]
	v_add_co_u32 v4, vcc_lo, 0xfd20, v95
	v_add_co_ci_u32_e32 v5, vcc_lo, 0, v118, vcc_lo
	global_load_b128 v[44:47], v[4:5], off offset:2160
	ds_load_b128 v[4:7], v94 offset:2160
	s_waitcnt vmcnt(0) lgkmcnt(0)
	v_mul_f64 v[48:49], v[6:7], v[46:47]
	v_mul_f64 v[46:47], v[4:5], v[46:47]
	s_delay_alu instid0(VALU_DEP_2) | instskip(NEXT) | instid1(VALU_DEP_2)
	v_fma_f64 v[4:5], v[4:5], v[44:45], -v[48:49]
	v_fma_f64 v[6:7], v[6:7], v[44:45], v[46:47]
	global_load_b128 v[46:49], v[0:1], off offset:3808
	s_waitcnt vmcnt(0)
	v_mul_f64 v[0:1], v[52:53], v[48:49]
	v_mul_f64 v[48:49], v[50:51], v[48:49]
	s_delay_alu instid0(VALU_DEP_2) | instskip(SKIP_2) | instid1(VALU_DEP_4)
	v_fma_f64 v[44:45], v[50:51], v[46:47], -v[0:1]
	v_add_co_u32 v0, vcc_lo, 0x13000, v95
	v_add_co_ci_u32_e32 v1, vcc_lo, 0, v118, vcc_lo
	v_fma_f64 v[46:47], v[52:53], v[46:47], v[48:49]
	v_add_co_u32 v92, vcc_lo, 0x15000, v95
	global_load_b128 v[50:53], v[0:1], off offset:2096
	v_add_co_ci_u32_e32 v93, vcc_lo, 0, v118, vcc_lo
	v_add_co_u32 v100, vcc_lo, 0x18000, v95
	v_add_co_ci_u32_e32 v101, vcc_lo, 0, v118, vcc_lo
	v_add_co_u32 v106, vcc_lo, 0x1b000, v95
	;; [unrolled: 2-line block ×3, first 2 shown]
	v_add_co_ci_u32_e32 v109, vcc_lo, 0, v118, vcc_lo
	s_waitcnt vmcnt(0)
	v_mul_f64 v[0:1], v[56:57], v[52:53]
	v_mul_f64 v[52:53], v[54:55], v[52:53]
	s_delay_alu instid0(VALU_DEP_2) | instskip(NEXT) | instid1(VALU_DEP_2)
	v_fma_f64 v[48:49], v[54:55], v[50:51], -v[0:1]
	v_fma_f64 v[50:51], v[56:57], v[50:51], v[52:53]
	global_load_b128 v[54:57], v[92:93], off offset:384
	s_waitcnt vmcnt(0)
	v_mul_f64 v[0:1], v[60:61], v[56:57]
	v_mul_f64 v[56:57], v[58:59], v[56:57]
	s_delay_alu instid0(VALU_DEP_2)
	v_fma_f64 v[52:53], v[58:59], v[54:55], -v[0:1]
	global_load_b128 v[0:3], v[2:3], off offset:2768
	v_fma_f64 v[54:55], v[60:61], v[54:55], v[56:57]
	ds_load_b128 v[56:59], v94 offset:28080
	s_waitcnt vmcnt(0) lgkmcnt(0)
	v_mul_f64 v[60:61], v[58:59], v[2:3]
	v_mul_f64 v[2:3], v[56:57], v[2:3]
	s_delay_alu instid0(VALU_DEP_2) | instskip(NEXT) | instid1(VALU_DEP_2)
	v_fma_f64 v[56:57], v[56:57], v[0:1], -v[60:61]
	v_fma_f64 v[58:59], v[58:59], v[0:1], v[2:3]
	global_load_b128 v[0:3], v[100:101], off offset:1056
	ds_load_b128 v[60:63], v94 offset:34560
	s_waitcnt vmcnt(0) lgkmcnt(0)
	v_mul_f64 v[66:67], v[62:63], v[2:3]
	v_mul_f64 v[2:3], v[60:61], v[2:3]
	s_delay_alu instid0(VALU_DEP_2) | instskip(NEXT) | instid1(VALU_DEP_2)
	v_fma_f64 v[60:61], v[60:61], v[0:1], -v[66:67]
	v_fma_f64 v[62:63], v[62:63], v[0:1], v[2:3]
	global_load_b128 v[0:3], v[64:65], off offset:3440
	;; [unrolled: 8-line block ×4, first 2 shown]
	ds_load_b128 v[72:75], v94 offset:54000
	s_waitcnt vmcnt(0) lgkmcnt(0)
	v_mul_f64 v[82:83], v[74:75], v[2:3]
	v_mul_f64 v[2:3], v[72:73], v[2:3]
	s_delay_alu instid0(VALU_DEP_2)
	v_fma_f64 v[72:73], v[72:73], v[0:1], -v[82:83]
	global_load_b128 v[80:83], v[80:81], off offset:2400
	v_fma_f64 v[74:75], v[74:75], v[0:1], v[2:3]
	ds_load_b128 v[0:3], v94 offset:60480
	s_waitcnt vmcnt(0) lgkmcnt(0)
	v_mul_f64 v[86:87], v[2:3], v[82:83]
	v_mul_f64 v[82:83], v[0:1], v[82:83]
	s_delay_alu instid0(VALU_DEP_2) | instskip(NEXT) | instid1(VALU_DEP_2)
	v_fma_f64 v[0:1], v[0:1], v[80:81], -v[86:87]
	v_fma_f64 v[2:3], v[2:3], v[80:81], v[82:83]
	v_add_co_u32 v80, vcc_lo, 0x10000, v95
	v_add_co_ci_u32_e32 v81, vcc_lo, 0, v118, vcc_lo
	global_load_b128 v[110:113], v[80:81], off offset:3584
	ds_load_b128 v[80:83], v94 offset:4320
	s_waitcnt vmcnt(0) lgkmcnt(0)
	v_mul_f64 v[86:87], v[82:83], v[112:113]
	v_mul_f64 v[90:91], v[80:81], v[112:113]
	s_delay_alu instid0(VALU_DEP_2) | instskip(NEXT) | instid1(VALU_DEP_2)
	v_fma_f64 v[80:81], v[80:81], v[110:111], -v[86:87]
	v_fma_f64 v[82:83], v[82:83], v[110:111], v[90:91]
	global_load_b128 v[110:113], v[84:85], off offset:1872
	ds_load_b128 v[84:87], v94 offset:10800
	s_waitcnt vmcnt(0) lgkmcnt(0)
	v_mul_f64 v[90:91], v[86:87], v[112:113]
	v_mul_f64 v[98:99], v[84:85], v[112:113]
	s_delay_alu instid0(VALU_DEP_2) | instskip(NEXT) | instid1(VALU_DEP_2)
	v_fma_f64 v[84:85], v[84:85], v[110:111], -v[90:91]
	v_fma_f64 v[86:87], v[86:87], v[110:111], v[98:99]
	global_load_b128 v[110:113], v[88:89], off offset:160
	ds_load_b128 v[88:91], v94 offset:17280
	s_waitcnt vmcnt(0) lgkmcnt(0)
	v_mul_f64 v[98:99], v[90:91], v[112:113]
	v_mul_f64 v[102:103], v[88:89], v[112:113]
	global_load_b128 v[112:115], v[92:93], off offset:2544
	v_fma_f64 v[88:89], v[88:89], v[110:111], -v[98:99]
	v_fma_f64 v[90:91], v[90:91], v[110:111], v[102:103]
	s_waitcnt vmcnt(0)
	v_mul_f64 v[92:93], v[121:122], v[114:115]
	v_mul_f64 v[98:99], v[119:120], v[114:115]
	global_load_b128 v[114:117], v[96:97], off offset:832
	v_fma_f64 v[110:111], v[119:120], v[112:113], -v[92:93]
	v_fma_f64 v[112:113], v[121:122], v[112:113], v[98:99]
	ds_load_b128 v[96:99], v94 offset:30240
	ds_load_b128 v[119:122], v94 offset:43200
	s_waitcnt vmcnt(0) lgkmcnt(1)
	v_mul_f64 v[92:93], v[98:99], v[116:117]
	v_mul_f64 v[102:103], v[96:97], v[116:117]
	s_delay_alu instid0(VALU_DEP_2) | instskip(NEXT) | instid1(VALU_DEP_2)
	v_fma_f64 v[96:97], v[96:97], v[114:115], -v[92:93]
	v_fma_f64 v[98:99], v[98:99], v[114:115], v[102:103]
	global_load_b128 v[114:117], v[100:101], off offset:3216
	ds_load_b128 v[100:103], v94 offset:36720
	s_waitcnt vmcnt(0) lgkmcnt(0)
	v_mul_f64 v[92:93], v[102:103], v[116:117]
	v_mul_f64 v[116:117], v[100:101], v[116:117]
	s_delay_alu instid0(VALU_DEP_2) | instskip(NEXT) | instid1(VALU_DEP_2)
	v_fma_f64 v[100:101], v[100:101], v[114:115], -v[92:93]
	v_fma_f64 v[102:103], v[102:103], v[114:115], v[116:117]
	global_load_b128 v[114:117], v[104:105], off offset:1504
	s_waitcnt vmcnt(0)
	v_mul_f64 v[104:105], v[119:120], v[116:117]
	v_mul_f64 v[92:93], v[121:122], v[116:117]
	s_delay_alu instid0(VALU_DEP_2)
	v_fma_f64 v[121:122], v[121:122], v[114:115], v[104:105]
	global_load_b128 v[104:107], v[106:107], off offset:3888
	v_fma_f64 v[119:120], v[119:120], v[114:115], -v[92:93]
	ds_load_b128 v[114:117], v94 offset:49680
	s_waitcnt vmcnt(0) lgkmcnt(0)
	v_mul_f64 v[92:93], v[116:117], v[106:107]
	v_mul_f64 v[106:107], v[114:115], v[106:107]
	s_delay_alu instid0(VALU_DEP_2) | instskip(NEXT) | instid1(VALU_DEP_2)
	v_fma_f64 v[114:115], v[114:115], v[104:105], -v[92:93]
	v_fma_f64 v[116:117], v[116:117], v[104:105], v[106:107]
	global_load_b128 v[104:107], v[108:109], off offset:2176
	s_waitcnt vmcnt(0)
	v_mul_f64 v[92:93], v[125:126], v[106:107]
	v_mul_f64 v[108:109], v[123:124], v[106:107]
	s_delay_alu instid0(VALU_DEP_2) | instskip(SKIP_2) | instid1(VALU_DEP_4)
	v_fma_f64 v[106:107], v[123:124], v[104:105], -v[92:93]
	v_add_co_u32 v92, vcc_lo, 0x1f000, v95
	v_add_co_ci_u32_e32 v93, vcc_lo, 0, v118, vcc_lo
	v_fma_f64 v[108:109], v[125:126], v[104:105], v[108:109]
	global_load_b128 v[123:126], v[92:93], off offset:464
	s_waitcnt vmcnt(0)
	v_mul_f64 v[92:93], v[129:130], v[125:126]
	v_mul_f64 v[104:105], v[127:128], v[125:126]
	s_delay_alu instid0(VALU_DEP_2) | instskip(NEXT) | instid1(VALU_DEP_2)
	v_fma_f64 v[125:126], v[127:128], v[123:124], -v[92:93]
	v_fma_f64 v[127:128], v[129:130], v[123:124], v[104:105]
	ds_store_b128 v94, v[76:79]
	ds_store_b128 v94, v[40:43] offset:6480
	ds_store_b128 v94, v[36:39] offset:12960
	;; [unrolled: 1-line block ×29, first 2 shown]
	s_waitcnt lgkmcnt(0)
	s_barrier
	buffer_gl0_inv
	ds_load_b128 v[0:3], v94
	ds_load_b128 v[4:7], v94 offset:12960
	ds_load_b128 v[8:11], v94 offset:25920
	s_waitcnt lgkmcnt(1)
	v_add_f64 v[12:13], v[0:1], v[4:5]
	s_waitcnt lgkmcnt(0)
	v_add_f64 v[24:25], v[4:5], -v[8:9]
	v_add_f64 v[26:27], v[8:9], -v[4:5]
	v_add_f64 v[32:33], v[6:7], -v[10:11]
	v_add_f64 v[34:35], v[10:11], -v[6:7]
	v_add_f64 v[16:17], v[12:13], v[8:9]
	v_add_f64 v[12:13], v[2:3], v[6:7]
	s_delay_alu instid0(VALU_DEP_1)
	v_add_f64 v[18:19], v[12:13], v[10:11]
	ds_load_b128 v[12:15], v94 offset:38880
	s_waitcnt lgkmcnt(0)
	v_add_f64 v[20:21], v[8:9], v[12:13]
	v_add_f64 v[22:23], v[10:11], -v[14:15]
	v_add_f64 v[28:29], v[10:11], v[14:15]
	v_add_f64 v[30:31], v[8:9], -v[12:13]
	ds_load_b128 v[8:11], v94 offset:51840
	s_waitcnt lgkmcnt(0)
	v_add_f64 v[36:37], v[6:7], -v[10:11]
	v_add_f64 v[38:39], v[4:5], v[8:9]
	v_add_f64 v[40:41], v[4:5], -v[8:9]
	v_add_f64 v[42:43], v[6:7], v[10:11]
	v_add_f64 v[4:5], v[16:17], v[12:13]
	;; [unrolled: 1-line block ×3, first 2 shown]
	v_add_f64 v[44:45], v[8:9], -v[12:13]
	v_add_f64 v[46:47], v[12:13], -v[8:9]
	;; [unrolled: 1-line block ×4, first 2 shown]
	v_fma_f64 v[20:21], v[20:21], -0.5, v[0:1]
	v_fma_f64 v[28:29], v[28:29], -0.5, v[2:3]
	;; [unrolled: 1-line block ×4, first 2 shown]
	v_add_f64 v[52:53], v[4:5], v[8:9]
	v_add_f64 v[54:55], v[6:7], v[10:11]
	ds_load_b128 v[4:7], v94 offset:6480
	ds_load_b128 v[8:11], v94 offset:19440
	;; [unrolled: 1-line block ×3, first 2 shown]
	v_add_f64 v[26:27], v[26:27], v[46:47]
	s_waitcnt lgkmcnt(1)
	v_add_f64 v[16:17], v[4:5], v[8:9]
	s_waitcnt lgkmcnt(0)
	v_add_f64 v[64:65], v[8:9], -v[12:13]
	v_add_f64 v[66:67], v[12:13], -v[8:9]
	;; [unrolled: 1-line block ×4, first 2 shown]
	v_add_f64 v[56:57], v[16:17], v[12:13]
	v_add_f64 v[16:17], v[6:7], v[10:11]
	s_delay_alu instid0(VALU_DEP_1)
	v_add_f64 v[58:59], v[16:17], v[14:15]
	ds_load_b128 v[16:19], v94 offset:45360
	s_waitcnt lgkmcnt(0)
	v_add_f64 v[68:69], v[14:15], v[18:19]
	v_add_f64 v[56:57], v[56:57], v[16:17]
	;; [unrolled: 1-line block ×3, first 2 shown]
	v_add_f64 v[62:63], v[14:15], -v[18:19]
	v_add_f64 v[70:71], v[12:13], -v[16:17]
	ds_load_b128 v[12:15], v94 offset:58320
	v_add_f64 v[58:59], v[58:59], v[18:19]
	s_waitcnt lgkmcnt(0)
	v_add_f64 v[78:79], v[8:9], v[12:13]
	v_add_f64 v[8:9], v[8:9], -v[12:13]
	v_add_f64 v[80:81], v[12:13], -v[16:17]
	;; [unrolled: 1-line block ×4, first 2 shown]
	v_add_f64 v[10:11], v[10:11], v[14:15]
	v_add_f64 v[82:83], v[14:15], -v[18:19]
	v_add_f64 v[18:19], v[18:19], -v[14:15]
	v_fma_f64 v[38:39], v[68:69], -0.5, v[6:7]
	v_add_f64 v[12:13], v[56:57], v[12:13]
	v_fma_f64 v[42:43], v[60:61], -0.5, v[4:5]
	v_add_f64 v[14:15], v[58:59], v[14:15]
	;; [unrolled: 2-line block ×4, first 2 shown]
	v_add_f64 v[24:25], v[72:73], v[82:83]
	v_add_f64 v[18:19], v[74:75], v[18:19]
	;; [unrolled: 1-line block ×3, first 2 shown]
	v_add_f64 v[119:120], v[52:53], -v[12:13]
	v_add_f64 v[12:13], v[32:33], v[48:49]
	v_fma_f64 v[32:33], v[8:9], s[18:19], v[38:39]
	v_fma_f64 v[44:45], v[76:77], s[20:21], v[42:43]
	;; [unrolled: 1-line block ×3, first 2 shown]
	v_add_f64 v[109:110], v[54:55], v[14:15]
	v_add_f64 v[121:122], v[54:55], -v[14:15]
	v_add_f64 v[14:15], v[64:65], v[80:81]
	v_fma_f64 v[32:33], v[70:71], s[14:15], v[32:33]
	v_fma_f64 v[44:45], v[62:63], s[16:17], v[44:45]
	;; [unrolled: 1-line block ×3, first 2 shown]
	s_delay_alu instid0(VALU_DEP_3) | instskip(NEXT) | instid1(VALU_DEP_3)
	v_fma_f64 v[32:33], v[24:25], s[12:13], v[32:33]
	v_fma_f64 v[44:45], v[14:15], s[12:13], v[44:45]
	s_delay_alu instid0(VALU_DEP_3) | instskip(NEXT) | instid1(VALU_DEP_3)
	v_fma_f64 v[52:53], v[12:13], s[12:13], v[52:53]
	v_mul_f64 v[48:49], v[32:33], s[16:17]
	s_delay_alu instid0(VALU_DEP_1) | instskip(SKIP_1) | instid1(VALU_DEP_1)
	v_fma_f64 v[48:49], v[44:45], s[22:23], v[48:49]
	v_mul_f64 v[44:45], v[44:45], s[14:15]
	v_fma_f64 v[32:33], v[32:33], s[22:23], v[44:45]
	v_fma_f64 v[44:45], v[36:37], s[20:21], v[20:21]
	s_delay_alu instid0(VALU_DEP_2) | instskip(NEXT) | instid1(VALU_DEP_2)
	v_add_f64 v[113:114], v[52:53], v[32:33]
	v_fma_f64 v[44:45], v[22:23], s[16:17], v[44:45]
	v_add_f64 v[117:118], v[52:53], -v[32:33]
	v_add_f64 v[32:33], v[34:35], v[50:51]
	v_fma_f64 v[34:35], v[70:71], s[20:21], v[6:7]
	v_fma_f64 v[6:7], v[70:71], s[18:19], v[6:7]
	;; [unrolled: 1-line block ×3, first 2 shown]
	s_delay_alu instid0(VALU_DEP_3) | instskip(NEXT) | instid1(VALU_DEP_3)
	v_fma_f64 v[34:35], v[8:9], s[14:15], v[34:35]
	v_fma_f64 v[6:7], v[8:9], s[16:17], v[6:7]
	s_delay_alu instid0(VALU_DEP_3)
	v_add_f64 v[111:112], v[44:45], v[48:49]
	v_add_f64 v[115:116], v[44:45], -v[48:49]
	v_fma_f64 v[44:45], v[62:63], s[18:19], v[4:5]
	v_fma_f64 v[34:35], v[18:19], s[12:13], v[34:35]
	;; [unrolled: 1-line block ×7, first 2 shown]
	v_mul_f64 v[46:47], v[34:35], s[20:21]
	v_mul_f64 v[34:35], v[34:35], s[12:13]
	v_fma_f64 v[4:5], v[76:77], s[14:15], v[4:5]
	v_fma_f64 v[48:49], v[40:41], s[14:15], v[48:49]
	;; [unrolled: 1-line block ×4, first 2 shown]
	s_delay_alu instid0(VALU_DEP_4)
	v_fma_f64 v[4:5], v[16:17], s[12:13], v[4:5]
	v_mul_f64 v[16:17], v[6:7], s[20:21]
	v_mul_f64 v[6:7], v[6:7], s[24:25]
	v_fma_f64 v[2:3], v[32:33], s[12:13], v[2:3]
	v_fma_f64 v[48:49], v[32:33], s[12:13], v[48:49]
	;; [unrolled: 1-line block ×9, first 2 shown]
	v_add_f64 v[101:102], v[48:49], v[34:35]
	v_fma_f64 v[44:45], v[36:37], s[16:17], v[44:45]
	v_fma_f64 v[0:1], v[36:37], s[14:15], v[0:1]
	v_add_f64 v[105:106], v[48:49], -v[34:35]
	v_add_f64 v[86:87], v[2:3], v[4:5]
	v_add_f64 v[97:98], v[2:3], -v[4:5]
	v_fma_f64 v[2:3], v[36:37], s[18:19], v[20:21]
	v_fma_f64 v[4:5], v[40:41], s[20:21], v[28:29]
	;; [unrolled: 1-line block ×8, first 2 shown]
	v_add_f64 v[99:100], v[44:45], v[46:47]
	v_add_f64 v[84:85], v[0:1], v[16:17]
	v_add_f64 v[95:96], v[0:1], -v[16:17]
	v_fma_f64 v[0:1], v[8:9], s[20:21], v[38:39]
	v_add_f64 v[103:104], v[44:45], -v[46:47]
	v_fma_f64 v[2:3], v[10:11], s[12:13], v[2:3]
	v_fma_f64 v[4:5], v[12:13], s[12:13], v[4:5]
	s_delay_alu instid0(VALU_DEP_4) | instskip(NEXT) | instid1(VALU_DEP_1)
	v_fma_f64 v[0:1], v[70:71], s[16:17], v[0:1]
	v_fma_f64 v[0:1], v[24:25], s[12:13], v[0:1]
	s_delay_alu instid0(VALU_DEP_1) | instskip(SKIP_1) | instid1(VALU_DEP_2)
	v_mul_f64 v[8:9], v[0:1], s[16:17]
	v_mul_f64 v[0:1], v[0:1], s[26:27]
	v_fma_f64 v[8:9], v[6:7], s[26:27], v[8:9]
	s_delay_alu instid0(VALU_DEP_2) | instskip(NEXT) | instid1(VALU_DEP_2)
	v_fma_f64 v[0:1], v[6:7], s[14:15], v[0:1]
	v_add_f64 v[80:81], v[2:3], v[8:9]
	s_delay_alu instid0(VALU_DEP_2)
	v_add_f64 v[82:83], v[4:5], v[0:1]
	v_add_f64 v[88:89], v[2:3], -v[8:9]
	v_add_f64 v[90:91], v[4:5], -v[0:1]
	ds_load_b128 v[60:63], v94 offset:2160
	ds_load_b128 v[64:67], v94 offset:8640
	;; [unrolled: 1-line block ×20, first 2 shown]
	s_waitcnt lgkmcnt(0)
	s_barrier
	buffer_gl0_inv
	scratch_load_b32 v92, off, off offset:1408 ; 4-byte Folded Reload
	s_waitcnt vmcnt(0)
	ds_store_b128 v92, v[107:110]
	ds_store_b128 v92, v[119:122] offset:80
	ds_store_b128 v92, v[111:114] offset:16
	ds_store_b128 v92, v[99:102] offset:32
	ds_store_b128 v92, v[84:87] offset:48
	ds_store_b128 v92, v[80:83] offset:64
	ds_store_b128 v92, v[115:118] offset:96
	ds_store_b128 v92, v[103:106] offset:112
	ds_store_b128 v92, v[95:98] offset:128
	ds_store_b128 v92, v[88:91] offset:144
	v_add_f64 v[80:81], v[60:61], v[12:13]
	v_add_f64 v[82:83], v[62:63], v[14:15]
	;; [unrolled: 1-line block ×3, first 2 shown]
	v_add_f64 v[88:89], v[12:13], -v[4:5]
	v_add_f64 v[90:91], v[4:5], -v[12:13]
	v_add_f64 v[95:96], v[4:5], -v[8:9]
	v_add_f64 v[103:104], v[12:13], -v[0:1]
	v_add_f64 v[86:87], v[6:7], -v[10:11]
	v_add_f64 v[92:93], v[6:7], v[10:11]
	v_add_f64 v[97:98], v[14:15], -v[6:7]
	v_add_f64 v[99:100], v[6:7], -v[14:15]
	;; [unrolled: 1-line block ×4, first 2 shown]
	v_add_f64 v[113:114], v[22:23], v[26:27]
	v_add_f64 v[109:110], v[28:29], -v[20:21]
	v_add_f64 v[111:112], v[20:21], -v[28:29]
	v_add_f64 v[119:120], v[28:29], v[16:17]
	v_add_f64 v[121:122], v[28:29], -v[16:17]
	v_add_f64 v[107:108], v[22:23], -v[26:27]
	;; [unrolled: 1-line block ×5, first 2 shown]
	v_add_f64 v[80:81], v[80:81], v[4:5]
	v_add_f64 v[82:83], v[82:83], v[6:7]
	;; [unrolled: 1-line block ×4, first 2 shown]
	v_fma_f64 v[84:85], v[84:85], -0.5, v[60:61]
	v_fma_f64 v[92:93], v[92:93], -0.5, v[62:63]
	;; [unrolled: 1-line block ×3, first 2 shown]
	v_add_f64 v[12:13], v[80:81], v[8:9]
	v_add_f64 v[14:15], v[82:83], v[10:11]
	v_add_f64 v[80:81], v[0:1], -v[8:9]
	v_add_f64 v[82:83], v[8:9], -v[0:1]
	;; [unrolled: 1-line block ×3, first 2 shown]
	v_fma_f64 v[60:61], v[4:5], -0.5, v[60:61]
	v_fma_f64 v[62:63], v[6:7], -0.5, v[62:63]
	v_add_f64 v[10:11], v[12:13], v[0:1]
	v_add_f64 v[0:1], v[64:65], v[28:29]
	;; [unrolled: 1-line block ×7, first 2 shown]
	v_add_f64 v[20:21], v[30:31], -v[22:23]
	v_add_f64 v[2:3], v[2:3], v[22:23]
	v_add_f64 v[22:23], v[22:23], -v[30:31]
	v_add_f64 v[30:31], v[16:17], -v[24:25]
	v_fma_f64 v[125:126], v[14:15], -0.5, v[64:65]
	v_fma_f64 v[28:29], v[28:29], -0.5, v[66:67]
	v_add_f64 v[66:67], v[88:89], v[80:81]
	v_add_f64 v[80:81], v[97:98], v[8:9]
	v_fma_f64 v[8:9], v[121:122], s[18:19], v[113:114]
	v_fma_f64 v[64:65], v[119:120], -0.5, v[64:65]
	v_add_f64 v[0:1], v[0:1], v[24:25]
	v_add_f64 v[24:25], v[24:25], -v[16:17]
	v_add_f64 v[2:3], v[2:3], v[26:27]
	v_add_f64 v[97:98], v[20:21], v[123:124]
	v_add_f64 v[26:27], v[26:27], -v[18:19]
	v_add_f64 v[88:89], v[109:110], v[30:31]
	v_add_f64 v[30:31], v[90:91], v[82:83]
	;; [unrolled: 1-line block ×3, first 2 shown]
	v_fma_f64 v[8:9], v[115:116], s[14:15], v[8:9]
	v_add_f64 v[16:17], v[0:1], v[16:17]
	v_add_f64 v[24:25], v[111:112], v[24:25]
	;; [unrolled: 1-line block ×4, first 2 shown]
	v_fma_f64 v[8:9], v[97:98], s[12:13], v[8:9]
	v_add_f64 v[0:1], v[10:11], v[16:17]
	v_add_f64 v[4:5], v[10:11], -v[16:17]
	v_fma_f64 v[10:11], v[117:118], s[20:21], v[125:126]
	v_add_f64 v[2:3], v[12:13], v[18:19]
	v_add_f64 v[6:7], v[12:13], -v[18:19]
	v_mul_f64 v[12:13], v[8:9], s[16:17]
	s_delay_alu instid0(VALU_DEP_4) | instskip(NEXT) | instid1(VALU_DEP_1)
	v_fma_f64 v[10:11], v[107:108], s[16:17], v[10:11]
	v_fma_f64 v[10:11], v[88:89], s[12:13], v[10:11]
	s_delay_alu instid0(VALU_DEP_1) | instskip(SKIP_1) | instid1(VALU_DEP_1)
	v_fma_f64 v[12:13], v[10:11], s[22:23], v[12:13]
	v_mul_f64 v[10:11], v[10:11], s[14:15]
	v_fma_f64 v[14:15], v[8:9], s[22:23], v[10:11]
	v_fma_f64 v[8:9], v[101:102], s[20:21], v[84:85]
	;; [unrolled: 1-line block ×3, first 2 shown]
	s_delay_alu instid0(VALU_DEP_2) | instskip(NEXT) | instid1(VALU_DEP_2)
	v_fma_f64 v[8:9], v[86:87], s[16:17], v[8:9]
	v_fma_f64 v[10:11], v[95:96], s[14:15], v[10:11]
	s_delay_alu instid0(VALU_DEP_2) | instskip(NEXT) | instid1(VALU_DEP_2)
	v_fma_f64 v[16:17], v[66:67], s[12:13], v[8:9]
	v_fma_f64 v[18:19], v[80:81], s[12:13], v[10:11]
	s_delay_alu instid0(VALU_DEP_2) | instskip(SKIP_2) | instid1(VALU_DEP_4)
	v_add_f64 v[8:9], v[16:17], v[12:13]
	v_add_f64 v[12:13], v[16:17], -v[12:13]
	v_fma_f64 v[16:17], v[115:116], s[20:21], v[28:29]
	v_add_f64 v[10:11], v[18:19], v[14:15]
	v_add_f64 v[14:15], v[18:19], -v[14:15]
	v_fma_f64 v[18:19], v[107:108], s[18:19], v[64:65]
	v_fma_f64 v[28:29], v[115:116], s[18:19], v[28:29]
	;; [unrolled: 1-line block ×3, first 2 shown]
	s_delay_alu instid0(VALU_DEP_3) | instskip(NEXT) | instid1(VALU_DEP_3)
	v_fma_f64 v[18:19], v[117:118], s[16:17], v[18:19]
	v_fma_f64 v[28:29], v[121:122], s[16:17], v[28:29]
	s_delay_alu instid0(VALU_DEP_3) | instskip(NEXT) | instid1(VALU_DEP_3)
	v_fma_f64 v[16:17], v[26:27], s[12:13], v[16:17]
	v_fma_f64 v[18:19], v[24:25], s[12:13], v[18:19]
	s_delay_alu instid0(VALU_DEP_3) | instskip(SKIP_4) | instid1(VALU_DEP_4)
	v_fma_f64 v[26:27], v[26:27], s[12:13], v[28:29]
	v_fma_f64 v[28:29], v[107:108], s[20:21], v[64:65]
	;; [unrolled: 1-line block ×3, first 2 shown]
	v_mul_f64 v[20:21], v[16:17], s[20:21]
	v_mul_f64 v[16:17], v[16:17], s[12:13]
	v_fma_f64 v[28:29], v[117:118], s[14:15], v[28:29]
	s_delay_alu instid0(VALU_DEP_4) | instskip(NEXT) | instid1(VALU_DEP_4)
	v_fma_f64 v[64:65], v[95:96], s[16:17], v[64:65]
	v_fma_f64 v[20:21], v[18:19], s[12:13], v[20:21]
	s_delay_alu instid0(VALU_DEP_4)
	v_fma_f64 v[22:23], v[18:19], s[18:19], v[16:17]
	v_fma_f64 v[16:17], v[86:87], s[18:19], v[60:61]
	;; [unrolled: 1-line block ×5, first 2 shown]
	v_mul_f64 v[28:29], v[26:27], s[20:21]
	v_mul_f64 v[26:27], v[26:27], s[24:25]
	v_fma_f64 v[80:81], v[80:81], s[12:13], v[64:65]
	v_fma_f64 v[16:17], v[101:102], s[16:17], v[16:17]
	;; [unrolled: 1-line block ×5, first 2 shown]
	s_delay_alu instid0(VALU_DEP_4) | instskip(NEXT) | instid1(VALU_DEP_4)
	v_fma_f64 v[90:91], v[30:31], s[12:13], v[16:17]
	v_fma_f64 v[30:31], v[30:31], s[12:13], v[60:61]
	;; [unrolled: 1-line block ×5, first 2 shown]
	v_add_f64 v[16:17], v[90:91], v[20:21]
	v_add_f64 v[24:25], v[30:31], v[28:29]
	v_fma_f64 v[60:61], v[103:104], s[16:17], v[60:61]
	v_add_f64 v[28:29], v[30:31], -v[28:29]
	v_add_f64 v[18:19], v[99:100], v[22:23]
	v_add_f64 v[20:21], v[90:91], -v[20:21]
	v_add_f64 v[22:23], v[99:100], -v[22:23]
	v_fma_f64 v[60:61], v[82:83], s[12:13], v[60:61]
	v_fma_f64 v[82:83], v[117:118], s[18:19], v[125:126]
	s_delay_alu instid0(VALU_DEP_2) | instskip(SKIP_4) | instid1(VALU_DEP_3)
	v_add_f64 v[26:27], v[60:61], v[62:63]
	v_add_f64 v[30:31], v[60:61], -v[62:63]
	v_fma_f64 v[60:61], v[121:122], s[20:21], v[113:114]
	v_fma_f64 v[62:63], v[101:102], s[18:19], v[84:85]
	;; [unrolled: 1-line block ×4, first 2 shown]
	s_delay_alu instid0(VALU_DEP_3) | instskip(NEXT) | instid1(VALU_DEP_2)
	v_fma_f64 v[62:63], v[86:87], s[14:15], v[62:63]
	v_fma_f64 v[60:61], v[97:98], s[12:13], v[60:61]
	s_delay_alu instid0(VALU_DEP_2) | instskip(SKIP_1) | instid1(VALU_DEP_3)
	v_fma_f64 v[66:67], v[66:67], s[12:13], v[62:63]
	v_fma_f64 v[62:63], v[88:89], s[12:13], v[82:83]
	v_mul_f64 v[64:65], v[60:61], s[16:17]
	v_mul_f64 v[60:61], v[60:61], s[26:27]
	s_delay_alu instid0(VALU_DEP_2) | instskip(NEXT) | instid1(VALU_DEP_2)
	v_fma_f64 v[64:65], v[62:63], s[26:27], v[64:65]
	v_fma_f64 v[82:83], v[62:63], s[14:15], v[60:61]
	s_delay_alu instid0(VALU_DEP_2) | instskip(NEXT) | instid1(VALU_DEP_2)
	v_add_f64 v[60:61], v[66:67], v[64:65]
	v_add_f64 v[62:63], v[80:81], v[82:83]
	v_add_f64 v[64:65], v[66:67], -v[64:65]
	v_add_f64 v[66:67], v[80:81], -v[82:83]
	scratch_load_b32 v80, off, off offset:1360 ; 4-byte Folded Reload
	s_waitcnt vmcnt(0)
	ds_store_b128 v80, v[0:3]
	ds_store_b128 v80, v[8:11] offset:16
	ds_store_b128 v80, v[16:19] offset:32
	ds_store_b128 v80, v[24:27] offset:48
	ds_store_b128 v80, v[60:63] offset:64
	ds_store_b128 v80, v[4:7] offset:80
	ds_store_b128 v80, v[12:15] offset:96
	ds_store_b128 v80, v[20:23] offset:112
	ds_store_b128 v80, v[28:31] offset:128
	ds_store_b128 v80, v[64:67] offset:144
	v_add_f64 v[0:1], v[68:69], v[44:45]
	v_add_f64 v[2:3], v[70:71], v[46:47]
	v_add_f64 v[60:61], v[38:39], -v[42:43]
	v_add_f64 v[6:7], v[38:39], v[42:43]
	v_add_f64 v[10:11], v[46:47], -v[38:39]
	v_add_f64 v[18:19], v[38:39], -v[46:47]
	v_add_f64 v[14:15], v[46:47], v[34:35]
	v_add_f64 v[4:5], v[36:37], v[40:41]
	v_add_f64 v[8:9], v[44:45], -v[36:37]
	v_add_f64 v[16:17], v[36:37], -v[44:45]
	v_add_f64 v[12:13], v[44:45], v[32:33]
	v_add_f64 v[44:45], v[44:45], -v[32:33]
	v_add_f64 v[20:21], v[32:33], -v[40:41]
	;; [unrolled: 1-line block ×5, first 2 shown]
	v_add_f64 v[66:67], v[56:57], v[76:77]
	v_add_f64 v[62:63], v[58:59], -v[50:51]
	v_add_f64 v[64:65], v[58:59], -v[78:79]
	;; [unrolled: 1-line block ×4, first 2 shown]
	v_add_f64 v[0:1], v[0:1], v[36:37]
	v_add_f64 v[2:3], v[2:3], v[38:39]
	v_add_f64 v[38:39], v[46:47], -v[34:35]
	v_add_f64 v[46:47], v[50:51], v[54:55]
	v_add_f64 v[36:37], v[36:37], -v[40:41]
	v_fma_f64 v[86:87], v[6:7], -0.5, v[70:71]
	v_fma_f64 v[70:71], v[14:15], -0.5, v[70:71]
	;; [unrolled: 1-line block ×4, first 2 shown]
	v_add_f64 v[26:27], v[18:19], v[26:27]
	v_fma_f64 v[66:67], v[66:67], -0.5, v[72:73]
	v_add_f64 v[62:63], v[62:63], v[82:83]
	v_add_f64 v[0:1], v[0:1], v[40:41]
	;; [unrolled: 1-line block ×3, first 2 shown]
	v_add_f64 v[40:41], v[56:57], -v[48:49]
	v_add_f64 v[42:43], v[48:49], -v[56:57]
	v_fma_f64 v[46:47], v[46:47], -0.5, v[74:75]
	v_add_f64 v[28:29], v[0:1], v[32:33]
	v_add_f64 v[30:31], v[2:3], v[34:35]
	v_add_f64 v[0:1], v[72:73], v[56:57]
	v_add_f64 v[2:3], v[74:75], v[58:59]
	v_add_f64 v[32:33], v[48:49], v[52:53]
	v_add_f64 v[56:57], v[56:57], -v[76:77]
	v_add_f64 v[34:35], v[50:51], -v[54:55]
	v_add_f64 v[40:41], v[40:41], v[80:81]
	v_add_f64 v[0:1], v[0:1], v[48:49]
	;; [unrolled: 1-line block ×3, first 2 shown]
	v_add_f64 v[48:49], v[48:49], -v[52:53]
	v_add_f64 v[50:51], v[50:51], -v[58:59]
	v_add_f64 v[58:59], v[58:59], v[78:79]
	v_fma_f64 v[32:33], v[32:33], -0.5, v[72:73]
	v_add_f64 v[72:73], v[8:9], v[20:21]
	v_fma_f64 v[8:9], v[56:57], s[18:19], v[46:47]
	v_fma_f64 v[18:19], v[34:35], s[18:19], v[66:67]
	v_add_f64 v[0:1], v[0:1], v[52:53]
	v_add_f64 v[2:3], v[2:3], v[54:55]
	v_add_f64 v[54:55], v[54:55], -v[78:79]
	v_add_f64 v[52:53], v[52:53], -v[76:77]
	v_fma_f64 v[58:59], v[58:59], -0.5, v[74:75]
	v_add_f64 v[74:75], v[10:11], v[24:25]
	v_fma_f64 v[10:11], v[64:65], s[20:21], v[32:33]
	v_fma_f64 v[8:9], v[48:49], s[14:15], v[8:9]
	v_fma_f64 v[18:19], v[64:65], s[16:17], v[18:19]
	v_fma_f64 v[32:33], v[64:65], s[18:19], v[32:33]
	v_add_f64 v[76:77], v[0:1], v[76:77]
	v_add_f64 v[78:79], v[2:3], v[78:79]
	v_fma_f64 v[10:11], v[34:35], s[16:17], v[10:11]
	v_fma_f64 v[8:9], v[62:63], s[12:13], v[8:9]
	;; [unrolled: 1-line block ×3, first 2 shown]
	v_add_f64 v[0:1], v[28:29], v[76:77]
	v_add_f64 v[2:3], v[30:31], v[78:79]
	v_add_f64 v[6:7], v[30:31], -v[78:79]
	v_add_f64 v[30:31], v[50:51], v[54:55]
	v_add_f64 v[4:5], v[28:29], -v[76:77]
	v_add_f64 v[28:29], v[42:43], v[52:53]
	v_fma_f64 v[10:11], v[40:41], s[12:13], v[10:11]
	v_mul_f64 v[12:13], v[8:9], s[16:17]
	v_fma_f64 v[32:33], v[40:41], s[12:13], v[32:33]
	s_delay_alu instid0(VALU_DEP_4) | instskip(NEXT) | instid1(VALU_DEP_3)
	v_fma_f64 v[18:19], v[28:29], s[12:13], v[18:19]
	v_fma_f64 v[12:13], v[10:11], s[22:23], v[12:13]
	v_mul_f64 v[10:11], v[10:11], s[14:15]
	s_delay_alu instid0(VALU_DEP_1) | instskip(SKIP_2) | instid1(VALU_DEP_2)
	v_fma_f64 v[14:15], v[8:9], s[22:23], v[10:11]
	v_fma_f64 v[10:11], v[44:45], s[18:19], v[86:87]
	;; [unrolled: 1-line block ×4, first 2 shown]
	s_delay_alu instid0(VALU_DEP_2) | instskip(NEXT) | instid1(VALU_DEP_2)
	v_fma_f64 v[8:9], v[60:61], s[16:17], v[8:9]
	v_fma_f64 v[24:25], v[74:75], s[12:13], v[10:11]
	s_delay_alu instid0(VALU_DEP_2) | instskip(NEXT) | instid1(VALU_DEP_2)
	v_fma_f64 v[20:21], v[72:73], s[12:13], v[8:9]
	v_add_f64 v[10:11], v[24:25], v[14:15]
	v_add_f64 v[14:15], v[24:25], -v[14:15]
	v_add_f64 v[24:25], v[16:17], v[22:23]
	v_fma_f64 v[16:17], v[48:49], s[20:21], v[58:59]
	v_add_f64 v[8:9], v[20:21], v[12:13]
	v_add_f64 v[12:13], v[20:21], -v[12:13]
	s_delay_alu instid0(VALU_DEP_3) | instskip(NEXT) | instid1(VALU_DEP_1)
	v_fma_f64 v[16:17], v[56:57], s[14:15], v[16:17]
	v_fma_f64 v[16:17], v[30:31], s[12:13], v[16:17]
	s_delay_alu instid0(VALU_DEP_1) | instskip(SKIP_1) | instid1(VALU_DEP_2)
	v_mul_f64 v[20:21], v[16:17], s[20:21]
	v_mul_f64 v[16:17], v[16:17], s[12:13]
	v_fma_f64 v[20:21], v[18:19], s[12:13], v[20:21]
	s_delay_alu instid0(VALU_DEP_2) | instskip(SKIP_2) | instid1(VALU_DEP_2)
	v_fma_f64 v[22:23], v[18:19], s[18:19], v[16:17]
	v_fma_f64 v[16:17], v[60:61], s[18:19], v[68:69]
	v_fma_f64 v[18:19], v[36:37], s[20:21], v[70:71]
	v_fma_f64 v[16:17], v[38:39], s[16:17], v[16:17]
	s_delay_alu instid0(VALU_DEP_2) | instskip(NEXT) | instid1(VALU_DEP_2)
	v_fma_f64 v[18:19], v[44:45], s[14:15], v[18:19]
	v_fma_f64 v[42:43], v[24:25], s[12:13], v[16:17]
	s_delay_alu instid0(VALU_DEP_2) | instskip(NEXT) | instid1(VALU_DEP_2)
	v_fma_f64 v[50:51], v[26:27], s[12:13], v[18:19]
	v_add_f64 v[16:17], v[42:43], v[20:21]
	v_add_f64 v[20:21], v[42:43], -v[20:21]
	v_fma_f64 v[42:43], v[60:61], s[20:21], v[68:69]
	s_delay_alu instid0(VALU_DEP_4) | instskip(SKIP_1) | instid1(VALU_DEP_3)
	v_add_f64 v[18:19], v[50:51], v[22:23]
	v_add_f64 v[22:23], v[50:51], -v[22:23]
	v_fma_f64 v[42:43], v[38:39], s[14:15], v[42:43]
	v_fma_f64 v[38:39], v[38:39], s[18:19], v[84:85]
	s_delay_alu instid0(VALU_DEP_2) | instskip(SKIP_1) | instid1(VALU_DEP_3)
	v_fma_f64 v[42:43], v[24:25], s[12:13], v[42:43]
	v_fma_f64 v[24:25], v[36:37], s[18:19], v[70:71]
	;; [unrolled: 1-line block ×3, first 2 shown]
	s_delay_alu instid0(VALU_DEP_2) | instskip(SKIP_1) | instid1(VALU_DEP_3)
	v_fma_f64 v[24:25], v[44:45], s[16:17], v[24:25]
	v_fma_f64 v[44:45], v[44:45], s[20:21], v[86:87]
	;; [unrolled: 1-line block ×3, first 2 shown]
	s_delay_alu instid0(VALU_DEP_3) | instskip(SKIP_3) | instid1(VALU_DEP_3)
	v_fma_f64 v[50:51], v[26:27], s[12:13], v[24:25]
	v_fma_f64 v[24:25], v[48:49], s[18:19], v[58:59]
	;; [unrolled: 1-line block ×5, first 2 shown]
	s_delay_alu instid0(VALU_DEP_3) | instskip(NEXT) | instid1(VALU_DEP_2)
	v_fma_f64 v[26:27], v[64:65], s[14:15], v[26:27]
	v_fma_f64 v[24:25], v[30:31], s[12:13], v[24:25]
	s_delay_alu instid0(VALU_DEP_2) | instskip(NEXT) | instid1(VALU_DEP_2)
	v_fma_f64 v[26:27], v[28:29], s[12:13], v[26:27]
	v_mul_f64 v[28:29], v[24:25], s[20:21]
	v_mul_f64 v[24:25], v[24:25], s[24:25]
	s_delay_alu instid0(VALU_DEP_2) | instskip(NEXT) | instid1(VALU_DEP_2)
	v_fma_f64 v[28:29], v[26:27], s[24:25], v[28:29]
	v_fma_f64 v[30:31], v[26:27], s[18:19], v[24:25]
	s_delay_alu instid0(VALU_DEP_2) | instskip(SKIP_2) | instid1(VALU_DEP_4)
	v_add_f64 v[24:25], v[42:43], v[28:29]
	v_add_f64 v[28:29], v[42:43], -v[28:29]
	v_fma_f64 v[42:43], v[56:57], s[20:21], v[46:47]
	v_add_f64 v[26:27], v[50:51], v[30:31]
	v_add_f64 v[30:31], v[50:51], -v[30:31]
	s_delay_alu instid0(VALU_DEP_3) | instskip(NEXT) | instid1(VALU_DEP_1)
	v_fma_f64 v[42:43], v[48:49], s[16:17], v[42:43]
	v_fma_f64 v[34:35], v[62:63], s[12:13], v[42:43]
	;; [unrolled: 1-line block ×3, first 2 shown]
	s_delay_alu instid0(VALU_DEP_2) | instskip(SKIP_1) | instid1(VALU_DEP_2)
	v_mul_f64 v[36:37], v[34:35], s[16:17]
	v_mul_f64 v[34:35], v[34:35], s[26:27]
	v_fma_f64 v[36:37], v[32:33], s[26:27], v[36:37]
	s_delay_alu instid0(VALU_DEP_2) | instskip(NEXT) | instid1(VALU_DEP_2)
	v_fma_f64 v[40:41], v[32:33], s[14:15], v[34:35]
	v_add_f64 v[32:33], v[38:39], v[36:37]
	s_delay_alu instid0(VALU_DEP_2)
	v_add_f64 v[34:35], v[42:43], v[40:41]
	v_add_f64 v[36:37], v[38:39], -v[36:37]
	v_add_f64 v[38:39], v[42:43], -v[40:41]
	scratch_load_b32 v40, off, off offset:1292 ; 4-byte Folded Reload
	s_waitcnt vmcnt(0)
	ds_store_b128 v40, v[0:3]
	ds_store_b128 v40, v[8:11] offset:16
	ds_store_b128 v40, v[16:19] offset:32
	;; [unrolled: 1-line block ×9, first 2 shown]
	s_waitcnt lgkmcnt(0)
	s_barrier
	buffer_gl0_inv
	s_clause 0x3
	scratch_load_b128 v[8:11], off, off offset:1228
	scratch_load_b128 v[22:25], off, off offset:1212
	;; [unrolled: 1-line block ×4, first 2 shown]
	ds_load_b128 v[4:7], v94 offset:12960
	s_waitcnt vmcnt(3) lgkmcnt(0)
	v_mul_f64 v[0:1], v[10:11], v[6:7]
	s_delay_alu instid0(VALU_DEP_1) | instskip(SKIP_1) | instid1(VALU_DEP_1)
	v_fma_f64 v[2:3], v[8:9], v[4:5], v[0:1]
	v_mul_f64 v[0:1], v[10:11], v[4:5]
	v_fma_f64 v[0:1], v[8:9], v[6:7], -v[0:1]
	ds_load_b128 v[8:11], v94 offset:25920
	s_waitcnt vmcnt(1) lgkmcnt(0)
	v_mul_f64 v[4:5], v[14:15], v[10:11]
	s_delay_alu instid0(VALU_DEP_1) | instskip(SKIP_1) | instid1(VALU_DEP_1)
	v_fma_f64 v[6:7], v[12:13], v[8:9], v[4:5]
	v_mul_f64 v[4:5], v[14:15], v[8:9]
	v_fma_f64 v[8:9], v[12:13], v[10:11], -v[4:5]
	ds_load_b128 v[12:15], v94 offset:38880
	s_waitcnt vmcnt(0) lgkmcnt(0)
	v_mul_f64 v[4:5], v[18:19], v[14:15]
	s_delay_alu instid0(VALU_DEP_1)
	v_fma_f64 v[10:11], v[16:17], v[12:13], v[4:5]
	v_mul_f64 v[4:5], v[18:19], v[12:13]
	scratch_load_b128 v[18:21], off, off offset:1276 ; 16-byte Folded Reload
	v_add_f64 v[36:37], v[6:7], -v[10:11]
	v_fma_f64 v[4:5], v[16:17], v[14:15], -v[4:5]
	ds_load_b128 v[14:17], v94 offset:51840
	v_add_f64 v[32:33], v[8:9], -v[4:5]
	s_waitcnt vmcnt(0) lgkmcnt(0)
	v_mul_f64 v[12:13], v[20:21], v[16:17]
	s_delay_alu instid0(VALU_DEP_1) | instskip(SKIP_1) | instid1(VALU_DEP_2)
	v_fma_f64 v[12:13], v[18:19], v[14:15], v[12:13]
	v_mul_f64 v[14:15], v[20:21], v[14:15]
	v_add_f64 v[38:39], v[2:3], -v[12:13]
	s_delay_alu instid0(VALU_DEP_2) | instskip(SKIP_4) | instid1(VALU_DEP_2)
	v_fma_f64 v[14:15], v[18:19], v[16:17], -v[14:15]
	ds_load_b128 v[16:19], v94 offset:15120
	s_waitcnt lgkmcnt(0)
	v_mul_f64 v[20:21], v[24:25], v[18:19]
	v_add_f64 v[34:35], v[0:1], -v[14:15]
	v_fma_f64 v[106:107], v[22:23], v[16:17], v[20:21]
	v_mul_f64 v[16:17], v[24:25], v[16:17]
	s_delay_alu instid0(VALU_DEP_1) | instskip(SKIP_4) | instid1(VALU_DEP_1)
	v_fma_f64 v[104:105], v[22:23], v[18:19], -v[16:17]
	scratch_load_b128 v[22:25], off, off offset:1196 ; 16-byte Folded Reload
	ds_load_b128 v[16:19], v94 offset:28080
	s_waitcnt vmcnt(0) lgkmcnt(0)
	v_mul_f64 v[20:21], v[24:25], v[18:19]
	v_fma_f64 v[108:109], v[22:23], v[16:17], v[20:21]
	v_mul_f64 v[16:17], v[24:25], v[16:17]
	s_delay_alu instid0(VALU_DEP_1) | instskip(SKIP_4) | instid1(VALU_DEP_1)
	v_fma_f64 v[110:111], v[22:23], v[18:19], -v[16:17]
	scratch_load_b128 v[22:25], off, off offset:1180 ; 16-byte Folded Reload
	ds_load_b128 v[16:19], v94 offset:41040
	s_waitcnt vmcnt(0) lgkmcnt(0)
	v_mul_f64 v[20:21], v[24:25], v[18:19]
	;; [unrolled: 8-line block ×19, first 2 shown]
	v_fma_f64 v[54:55], v[22:23], v[16:17], v[20:21]
	v_mul_f64 v[16:17], v[24:25], v[16:17]
	ds_load_b128 v[24:27], v94
	v_fma_f64 v[52:53], v[22:23], v[18:19], -v[16:17]
	v_add_f64 v[16:17], v[6:7], -v[2:3]
	v_add_f64 v[18:19], v[10:11], -v[12:13]
	s_delay_alu instid0(VALU_DEP_1) | instskip(SKIP_2) | instid1(VALU_DEP_1)
	v_add_f64 v[20:21], v[16:17], v[18:19]
	v_add_f64 v[16:17], v[8:9], -v[0:1]
	v_add_f64 v[18:19], v[4:5], -v[14:15]
	v_add_f64 v[22:23], v[16:17], v[18:19]
	v_add_f64 v[16:17], v[2:3], v[12:13]
	s_waitcnt lgkmcnt(0)
	s_delay_alu instid0(VALU_DEP_1) | instskip(SKIP_1) | instid1(VALU_DEP_1)
	v_fma_f64 v[28:29], v[16:17], -0.5, v[24:25]
	v_add_f64 v[16:17], v[0:1], v[14:15]
	v_fma_f64 v[30:31], v[16:17], -0.5, v[26:27]
	s_delay_alu instid0(VALU_DEP_3) | instskip(SKIP_1) | instid1(VALU_DEP_3)
	v_fma_f64 v[16:17], v[32:33], s[18:19], v[28:29]
	v_fma_f64 v[28:29], v[32:33], s[20:21], v[28:29]
	v_fma_f64 v[18:19], v[36:37], s[20:21], v[30:31]
	s_delay_alu instid0(VALU_DEP_3) | instskip(NEXT) | instid1(VALU_DEP_3)
	v_fma_f64 v[16:17], v[34:35], s[16:17], v[16:17]
	v_fma_f64 v[28:29], v[34:35], s[14:15], v[28:29]
	;; [unrolled: 1-line block ×3, first 2 shown]
	s_delay_alu instid0(VALU_DEP_4) | instskip(NEXT) | instid1(VALU_DEP_4)
	v_fma_f64 v[18:19], v[38:39], s[14:15], v[18:19]
	v_fma_f64 v[16:17], v[20:21], s[12:13], v[16:17]
	s_delay_alu instid0(VALU_DEP_4) | instskip(SKIP_3) | instid1(VALU_DEP_3)
	v_fma_f64 v[20:21], v[20:21], s[12:13], v[28:29]
	v_add_f64 v[28:29], v[6:7], v[10:11]
	v_fma_f64 v[30:31], v[38:39], s[16:17], v[30:31]
	v_fma_f64 v[18:19], v[22:23], s[12:13], v[18:19]
	v_fma_f64 v[122:123], v[28:29], -0.5, v[24:25]
	v_add_f64 v[28:29], v[8:9], v[4:5]
	v_add_f64 v[24:25], v[24:25], v[2:3]
	v_add_f64 v[2:3], v[2:3], -v[6:7]
	v_fma_f64 v[22:23], v[22:23], s[12:13], v[30:31]
	s_delay_alu instid0(VALU_DEP_4) | instskip(SKIP_3) | instid1(VALU_DEP_3)
	v_fma_f64 v[124:125], v[28:29], -0.5, v[26:27]
	v_add_f64 v[26:27], v[26:27], v[0:1]
	v_add_f64 v[6:7], v[24:25], v[6:7]
	v_add_f64 v[0:1], v[0:1], -v[8:9]
	v_add_f64 v[24:25], v[26:27], v[8:9]
	s_delay_alu instid0(VALU_DEP_3) | instskip(SKIP_1) | instid1(VALU_DEP_3)
	v_add_f64 v[6:7], v[6:7], v[10:11]
	v_add_f64 v[10:11], v[12:13], -v[10:11]
	v_add_f64 v[8:9], v[24:25], v[4:5]
	s_delay_alu instid0(VALU_DEP_3)
	v_add_f64 v[28:29], v[6:7], v[12:13]
	v_add_f64 v[4:5], v[14:15], -v[4:5]
	v_fma_f64 v[6:7], v[34:35], s[20:21], v[122:123]
	v_fma_f64 v[12:13], v[38:39], s[18:19], v[124:125]
	v_add_f64 v[2:3], v[2:3], v[10:11]
	v_add_f64 v[30:31], v[8:9], v[14:15]
	v_fma_f64 v[8:9], v[34:35], s[18:19], v[122:123]
	v_fma_f64 v[14:15], v[38:39], s[20:21], v[124:125]
	v_add_f64 v[0:1], v[0:1], v[4:5]
	v_fma_f64 v[4:5], v[32:33], s[16:17], v[6:7]
	s_delay_alu instid0(VALU_DEP_4) | instskip(SKIP_2) | instid1(VALU_DEP_4)
	v_fma_f64 v[6:7], v[32:33], s[14:15], v[8:9]
	v_fma_f64 v[8:9], v[36:37], s[14:15], v[12:13]
	;; [unrolled: 1-line block ×4, first 2 shown]
	s_delay_alu instid0(VALU_DEP_4) | instskip(NEXT) | instid1(VALU_DEP_4)
	v_fma_f64 v[24:25], v[2:3], s[12:13], v[6:7]
	v_fma_f64 v[34:35], v[0:1], s[12:13], v[8:9]
	s_delay_alu instid0(VALU_DEP_4)
	v_fma_f64 v[26:27], v[0:1], s[12:13], v[10:11]
	ds_load_b128 v[36:39], v94 offset:2160
	ds_load_b128 v[12:15], v94 offset:4320
	;; [unrolled: 1-line block ×5, first 2 shown]
	s_waitcnt lgkmcnt(0)
	s_barrier
	buffer_gl0_inv
	scratch_load_b32 v95, off, off offset:904 ; 4-byte Folded Reload
	s_waitcnt vmcnt(0)
	ds_store_b128 v95, v[28:31]
	ds_store_b128 v95, v[32:35] offset:160
	ds_store_b128 v95, v[16:19] offset:320
	ds_store_b128 v95, v[20:23] offset:480
	ds_store_b128 v95, v[24:27] offset:640
	v_add_f64 v[16:17], v[108:109], -v[106:107]
	v_add_f64 v[18:19], v[114:115], -v[116:117]
	;; [unrolled: 1-line block ×6, first 2 shown]
	v_add_f64 v[20:21], v[16:17], v[18:19]
	v_add_f64 v[16:17], v[110:111], -v[104:105]
	v_add_f64 v[18:19], v[112:113], -v[118:119]
	s_delay_alu instid0(VALU_DEP_1) | instskip(SKIP_1) | instid1(VALU_DEP_1)
	v_add_f64 v[22:23], v[16:17], v[18:19]
	v_add_f64 v[16:17], v[106:107], v[116:117]
	v_fma_f64 v[24:25], v[16:17], -0.5, v[36:37]
	v_add_f64 v[16:17], v[104:105], v[118:119]
	s_delay_alu instid0(VALU_DEP_1) | instskip(NEXT) | instid1(VALU_DEP_3)
	v_fma_f64 v[26:27], v[16:17], -0.5, v[38:39]
	v_fma_f64 v[16:17], v[28:29], s[18:19], v[24:25]
	v_fma_f64 v[24:25], v[28:29], s[20:21], v[24:25]
	s_delay_alu instid0(VALU_DEP_3) | instskip(NEXT) | instid1(VALU_DEP_3)
	v_fma_f64 v[18:19], v[32:33], s[20:21], v[26:27]
	v_fma_f64 v[16:17], v[30:31], s[16:17], v[16:17]
	s_delay_alu instid0(VALU_DEP_3) | instskip(SKIP_1) | instid1(VALU_DEP_4)
	v_fma_f64 v[24:25], v[30:31], s[14:15], v[24:25]
	v_fma_f64 v[26:27], v[32:33], s[18:19], v[26:27]
	;; [unrolled: 1-line block ×3, first 2 shown]
	s_delay_alu instid0(VALU_DEP_4) | instskip(NEXT) | instid1(VALU_DEP_4)
	v_fma_f64 v[16:17], v[20:21], s[12:13], v[16:17]
	v_fma_f64 v[20:21], v[20:21], s[12:13], v[24:25]
	v_add_f64 v[24:25], v[108:109], v[114:115]
	v_fma_f64 v[26:27], v[34:35], s[16:17], v[26:27]
	v_fma_f64 v[18:19], v[22:23], s[12:13], v[18:19]
	s_delay_alu instid0(VALU_DEP_3) | instskip(SKIP_1) | instid1(VALU_DEP_4)
	v_fma_f64 v[122:123], v[24:25], -0.5, v[36:37]
	v_add_f64 v[24:25], v[110:111], v[112:113]
	v_fma_f64 v[22:23], v[22:23], s[12:13], v[26:27]
	v_add_f64 v[26:27], v[38:39], v[104:105]
	s_delay_alu instid0(VALU_DEP_3)
	v_fma_f64 v[124:125], v[24:25], -0.5, v[38:39]
	v_add_f64 v[24:25], v[36:37], v[106:107]
	v_add_f64 v[36:37], v[106:107], -v[108:109]
	v_add_f64 v[38:39], v[104:105], -v[110:111]
	v_add_f64 v[104:105], v[116:117], -v[114:115]
	v_add_f64 v[106:107], v[118:119], -v[112:113]
	v_add_f64 v[26:27], v[26:27], v[110:111]
	v_fma_f64 v[110:111], v[34:35], s[18:19], v[124:125]
	v_add_f64 v[24:25], v[24:25], v[108:109]
	v_fma_f64 v[108:109], v[30:31], s[20:21], v[122:123]
	v_fma_f64 v[30:31], v[30:31], s[18:19], v[122:123]
	v_fma_f64 v[34:35], v[34:35], s[20:21], v[124:125]
	v_add_f64 v[36:37], v[36:37], v[104:105]
	v_add_f64 v[38:39], v[38:39], v[106:107]
	;; [unrolled: 1-line block ×4, first 2 shown]
	v_fma_f64 v[104:105], v[28:29], s[16:17], v[108:109]
	v_fma_f64 v[106:107], v[28:29], s[14:15], v[30:31]
	;; [unrolled: 1-line block ×4, first 2 shown]
	v_add_f64 v[26:27], v[26:27], v[118:119]
	v_add_f64 v[24:25], v[24:25], v[116:117]
	v_fma_f64 v[28:29], v[36:37], s[12:13], v[104:105]
	v_fma_f64 v[32:33], v[36:37], s[12:13], v[106:107]
	scratch_load_b32 v36, off, off offset:900 ; 4-byte Folded Reload
	v_fma_f64 v[30:31], v[38:39], s[12:13], v[30:31]
	v_fma_f64 v[34:35], v[38:39], s[12:13], v[34:35]
	s_waitcnt vmcnt(0)
	ds_store_b128 v36, v[24:27]
	ds_store_b128 v36, v[28:31] offset:160
	ds_store_b128 v36, v[16:19] offset:320
	;; [unrolled: 1-line block ×4, first 2 shown]
	v_add_f64 v[16:17], v[120:121], -v[90:91]
	v_add_f64 v[18:19], v[98:99], -v[100:101]
	;; [unrolled: 1-line block ×8, first 2 shown]
	v_add_f64 v[20:21], v[16:17], v[18:19]
	v_add_f64 v[16:17], v[96:97], -v[88:89]
	v_add_f64 v[18:19], v[92:93], -v[102:103]
	s_delay_alu instid0(VALU_DEP_1) | instskip(SKIP_1) | instid1(VALU_DEP_1)
	v_add_f64 v[22:23], v[16:17], v[18:19]
	v_add_f64 v[16:17], v[90:91], v[100:101]
	v_fma_f64 v[24:25], v[16:17], -0.5, v[12:13]
	v_add_f64 v[16:17], v[88:89], v[102:103]
	s_delay_alu instid0(VALU_DEP_1) | instskip(NEXT) | instid1(VALU_DEP_3)
	v_fma_f64 v[26:27], v[16:17], -0.5, v[14:15]
	v_fma_f64 v[16:17], v[28:29], s[18:19], v[24:25]
	v_fma_f64 v[24:25], v[28:29], s[20:21], v[24:25]
	s_delay_alu instid0(VALU_DEP_3) | instskip(SKIP_1) | instid1(VALU_DEP_4)
	v_fma_f64 v[18:19], v[32:33], s[20:21], v[26:27]
	v_fma_f64 v[26:27], v[32:33], s[18:19], v[26:27]
	;; [unrolled: 1-line block ×3, first 2 shown]
	s_delay_alu instid0(VALU_DEP_4) | instskip(NEXT) | instid1(VALU_DEP_4)
	v_fma_f64 v[24:25], v[30:31], s[14:15], v[24:25]
	v_fma_f64 v[18:19], v[34:35], s[14:15], v[18:19]
	s_delay_alu instid0(VALU_DEP_4) | instskip(NEXT) | instid1(VALU_DEP_4)
	v_fma_f64 v[26:27], v[34:35], s[16:17], v[26:27]
	v_fma_f64 v[16:17], v[20:21], s[12:13], v[16:17]
	s_delay_alu instid0(VALU_DEP_4) | instskip(SKIP_4) | instid1(VALU_DEP_4)
	v_fma_f64 v[20:21], v[20:21], s[12:13], v[24:25]
	v_add_f64 v[24:25], v[120:121], v[98:99]
	v_fma_f64 v[18:19], v[22:23], s[12:13], v[18:19]
	v_fma_f64 v[22:23], v[22:23], s[12:13], v[26:27]
	v_add_f64 v[26:27], v[96:97], v[92:93]
	v_fma_f64 v[24:25], v[24:25], -0.5, v[12:13]
	v_add_f64 v[12:13], v[12:13], v[90:91]
	v_add_f64 v[90:91], v[102:103], -v[92:93]
	s_delay_alu instid0(VALU_DEP_4) | instskip(SKIP_3) | instid1(VALU_DEP_3)
	v_fma_f64 v[26:27], v[26:27], -0.5, v[14:15]
	v_add_f64 v[14:15], v[14:15], v[88:89]
	v_add_f64 v[88:89], v[100:101], -v[98:99]
	v_add_f64 v[12:13], v[12:13], v[120:121]
	v_add_f64 v[14:15], v[14:15], v[96:97]
	s_delay_alu instid0(VALU_DEP_2) | instskip(NEXT) | instid1(VALU_DEP_2)
	v_add_f64 v[12:13], v[12:13], v[98:99]
	v_add_f64 v[14:15], v[14:15], v[92:93]
	v_fma_f64 v[92:93], v[30:31], s[20:21], v[24:25]
	v_fma_f64 v[24:25], v[30:31], s[18:19], v[24:25]
	;; [unrolled: 1-line block ×4, first 2 shown]
	v_add_f64 v[34:35], v[36:37], v[88:89]
	v_add_f64 v[36:37], v[38:39], v[90:91]
	;; [unrolled: 1-line block ×4, first 2 shown]
	v_fma_f64 v[38:39], v[28:29], s[16:17], v[92:93]
	v_fma_f64 v[28:29], v[28:29], s[14:15], v[24:25]
	v_fma_f64 v[30:31], v[32:33], s[14:15], v[30:31]
	v_fma_f64 v[32:33], v[32:33], s[16:17], v[26:27]
	s_delay_alu instid0(VALU_DEP_4) | instskip(NEXT) | instid1(VALU_DEP_4)
	v_fma_f64 v[24:25], v[34:35], s[12:13], v[38:39]
	v_fma_f64 v[28:29], v[34:35], s[12:13], v[28:29]
	s_delay_alu instid0(VALU_DEP_4) | instskip(NEXT) | instid1(VALU_DEP_4)
	v_fma_f64 v[26:27], v[36:37], s[12:13], v[30:31]
	v_fma_f64 v[30:31], v[36:37], s[12:13], v[32:33]
	scratch_load_b32 v32, off, off offset:896 ; 4-byte Folded Reload
	s_waitcnt vmcnt(0)
	ds_store_b128 v32, v[12:15]
	ds_store_b128 v32, v[24:27] offset:160
	ds_store_b128 v32, v[16:19] offset:320
	;; [unrolled: 1-line block ×4, first 2 shown]
	v_add_f64 v[12:13], v[76:77], -v[74:75]
	v_add_f64 v[14:15], v[82:83], -v[84:85]
	;; [unrolled: 1-line block ×10, first 2 shown]
	v_add_f64 v[16:17], v[12:13], v[14:15]
	v_add_f64 v[12:13], v[78:79], -v[72:73]
	v_add_f64 v[14:15], v[80:81], -v[86:87]
	s_delay_alu instid0(VALU_DEP_1) | instskip(SKIP_1) | instid1(VALU_DEP_1)
	v_add_f64 v[18:19], v[12:13], v[14:15]
	v_add_f64 v[12:13], v[74:75], v[84:85]
	v_fma_f64 v[20:21], v[12:13], -0.5, v[8:9]
	v_add_f64 v[12:13], v[72:73], v[86:87]
	s_delay_alu instid0(VALU_DEP_1) | instskip(NEXT) | instid1(VALU_DEP_3)
	v_fma_f64 v[22:23], v[12:13], -0.5, v[10:11]
	v_fma_f64 v[12:13], v[24:25], s[18:19], v[20:21]
	v_fma_f64 v[20:21], v[24:25], s[20:21], v[20:21]
	s_delay_alu instid0(VALU_DEP_3) | instskip(SKIP_1) | instid1(VALU_DEP_4)
	v_fma_f64 v[14:15], v[28:29], s[20:21], v[22:23]
	v_fma_f64 v[22:23], v[28:29], s[18:19], v[22:23]
	;; [unrolled: 1-line block ×3, first 2 shown]
	s_delay_alu instid0(VALU_DEP_4) | instskip(NEXT) | instid1(VALU_DEP_4)
	v_fma_f64 v[20:21], v[26:27], s[14:15], v[20:21]
	v_fma_f64 v[14:15], v[30:31], s[14:15], v[14:15]
	s_delay_alu instid0(VALU_DEP_4) | instskip(NEXT) | instid1(VALU_DEP_4)
	v_fma_f64 v[22:23], v[30:31], s[16:17], v[22:23]
	v_fma_f64 v[12:13], v[16:17], s[12:13], v[12:13]
	s_delay_alu instid0(VALU_DEP_4) | instskip(SKIP_4) | instid1(VALU_DEP_4)
	v_fma_f64 v[16:17], v[16:17], s[12:13], v[20:21]
	v_add_f64 v[20:21], v[76:77], v[82:83]
	v_fma_f64 v[14:15], v[18:19], s[12:13], v[14:15]
	v_fma_f64 v[18:19], v[18:19], s[12:13], v[22:23]
	v_add_f64 v[22:23], v[78:79], v[80:81]
	v_fma_f64 v[20:21], v[20:21], -0.5, v[8:9]
	v_add_f64 v[8:9], v[8:9], v[74:75]
	s_delay_alu instid0(VALU_DEP_3) | instskip(SKIP_1) | instid1(VALU_DEP_4)
	v_fma_f64 v[22:23], v[22:23], -0.5, v[10:11]
	v_add_f64 v[10:11], v[10:11], v[72:73]
	v_fma_f64 v[72:73], v[26:27], s[20:21], v[20:21]
	v_fma_f64 v[20:21], v[26:27], s[18:19], v[20:21]
	v_add_f64 v[8:9], v[8:9], v[76:77]
	v_fma_f64 v[26:27], v[30:31], s[18:19], v[22:23]
	v_fma_f64 v[22:23], v[30:31], s[20:21], v[22:23]
	v_add_f64 v[30:31], v[32:33], v[36:37]
	v_add_f64 v[32:33], v[34:35], v[38:39]
	;; [unrolled: 1-line block ×4, first 2 shown]
	v_fma_f64 v[34:35], v[24:25], s[16:17], v[72:73]
	v_fma_f64 v[24:25], v[24:25], s[14:15], v[20:21]
	;; [unrolled: 1-line block ×4, first 2 shown]
	v_add_f64 v[10:11], v[10:11], v[80:81]
	v_add_f64 v[8:9], v[8:9], v[84:85]
	v_fma_f64 v[20:21], v[30:31], s[12:13], v[34:35]
	v_fma_f64 v[24:25], v[30:31], s[12:13], v[24:25]
	v_add_f64 v[30:31], v[56:57], -v[64:65]
	v_add_f64 v[34:35], v[70:71], -v[60:61]
	v_fma_f64 v[22:23], v[32:33], s[12:13], v[26:27]
	v_fma_f64 v[26:27], v[32:33], s[12:13], v[28:29]
	scratch_load_b32 v28, off, off offset:892 ; 4-byte Folded Reload
	v_add_f64 v[32:33], v[68:69], -v[66:67]
	v_add_f64 v[10:11], v[10:11], v[86:87]
	s_waitcnt vmcnt(0)
	ds_store_b128 v28, v[8:11]
	ds_store_b128 v28, v[20:23] offset:160
	ds_store_b128 v28, v[12:15] offset:320
	;; [unrolled: 1-line block ×4, first 2 shown]
	v_add_f64 v[8:9], v[62:63], -v[58:59]
	v_add_f64 v[10:11], v[66:67], -v[68:69]
	;; [unrolled: 1-line block ×7, first 2 shown]
	v_add_f64 v[12:13], v[8:9], v[10:11]
	v_add_f64 v[8:9], v[64:65], -v[56:57]
	v_add_f64 v[10:11], v[60:61], -v[70:71]
	s_delay_alu instid0(VALU_DEP_1) | instskip(SKIP_1) | instid1(VALU_DEP_1)
	v_add_f64 v[14:15], v[8:9], v[10:11]
	v_add_f64 v[8:9], v[58:59], v[68:69]
	v_fma_f64 v[16:17], v[8:9], -0.5, v[4:5]
	v_add_f64 v[8:9], v[56:57], v[70:71]
	s_delay_alu instid0(VALU_DEP_1) | instskip(NEXT) | instid1(VALU_DEP_3)
	v_fma_f64 v[18:19], v[8:9], -0.5, v[6:7]
	v_fma_f64 v[8:9], v[20:21], s[18:19], v[16:17]
	v_fma_f64 v[16:17], v[20:21], s[20:21], v[16:17]
	s_delay_alu instid0(VALU_DEP_3) | instskip(SKIP_1) | instid1(VALU_DEP_4)
	v_fma_f64 v[10:11], v[24:25], s[20:21], v[18:19]
	v_fma_f64 v[18:19], v[24:25], s[18:19], v[18:19]
	;; [unrolled: 1-line block ×3, first 2 shown]
	s_delay_alu instid0(VALU_DEP_4) | instskip(NEXT) | instid1(VALU_DEP_4)
	v_fma_f64 v[16:17], v[22:23], s[14:15], v[16:17]
	v_fma_f64 v[10:11], v[26:27], s[14:15], v[10:11]
	s_delay_alu instid0(VALU_DEP_4) | instskip(NEXT) | instid1(VALU_DEP_4)
	v_fma_f64 v[18:19], v[26:27], s[16:17], v[18:19]
	v_fma_f64 v[8:9], v[12:13], s[12:13], v[8:9]
	s_delay_alu instid0(VALU_DEP_4) | instskip(SKIP_4) | instid1(VALU_DEP_4)
	v_fma_f64 v[12:13], v[12:13], s[12:13], v[16:17]
	v_add_f64 v[16:17], v[62:63], v[66:67]
	v_fma_f64 v[10:11], v[14:15], s[12:13], v[10:11]
	v_fma_f64 v[14:15], v[14:15], s[12:13], v[18:19]
	v_add_f64 v[18:19], v[64:65], v[60:61]
	v_fma_f64 v[16:17], v[16:17], -0.5, v[4:5]
	v_add_f64 v[4:5], v[4:5], v[58:59]
	s_delay_alu instid0(VALU_DEP_3) | instskip(SKIP_1) | instid1(VALU_DEP_4)
	v_fma_f64 v[18:19], v[18:19], -0.5, v[6:7]
	v_add_f64 v[6:7], v[6:7], v[56:57]
	v_fma_f64 v[36:37], v[22:23], s[20:21], v[16:17]
	v_fma_f64 v[16:17], v[22:23], s[18:19], v[16:17]
	v_add_f64 v[4:5], v[4:5], v[62:63]
	v_fma_f64 v[22:23], v[26:27], s[18:19], v[18:19]
	v_fma_f64 v[18:19], v[26:27], s[20:21], v[18:19]
	v_add_f64 v[26:27], v[28:29], v[32:33]
	v_add_f64 v[28:29], v[30:31], v[34:35]
	;; [unrolled: 1-line block ×4, first 2 shown]
	v_fma_f64 v[30:31], v[20:21], s[16:17], v[36:37]
	v_fma_f64 v[20:21], v[20:21], s[14:15], v[16:17]
	;; [unrolled: 1-line block ×4, first 2 shown]
	v_add_f64 v[6:7], v[6:7], v[60:61]
	v_add_f64 v[4:5], v[4:5], v[68:69]
	v_fma_f64 v[16:17], v[26:27], s[12:13], v[30:31]
	v_fma_f64 v[20:21], v[26:27], s[12:13], v[20:21]
	v_add_f64 v[30:31], v[52:53], -v[48:49]
	v_fma_f64 v[18:19], v[28:29], s[12:13], v[22:23]
	v_fma_f64 v[22:23], v[28:29], s[12:13], v[24:25]
	scratch_load_b32 v24, off, off offset:888 ; 4-byte Folded Reload
	v_add_f64 v[28:29], v[40:41], -v[44:45]
	v_add_f64 v[6:7], v[6:7], v[70:71]
	s_waitcnt vmcnt(0)
	ds_store_b128 v24, v[4:7]
	ds_store_b128 v24, v[16:19] offset:160
	ds_store_b128 v24, v[8:11] offset:320
	;; [unrolled: 1-line block ×4, first 2 shown]
	v_add_f64 v[4:5], v[46:47], -v[42:43]
	v_add_f64 v[6:7], v[50:51], -v[54:55]
	;; [unrolled: 1-line block ×7, first 2 shown]
	v_add_f64 v[8:9], v[4:5], v[6:7]
	v_add_f64 v[4:5], v[44:45], -v[40:41]
	v_add_f64 v[6:7], v[48:49], -v[52:53]
	s_delay_alu instid0(VALU_DEP_1) | instskip(SKIP_1) | instid1(VALU_DEP_1)
	v_add_f64 v[10:11], v[4:5], v[6:7]
	v_add_f64 v[4:5], v[42:43], v[54:55]
	v_fma_f64 v[12:13], v[4:5], -0.5, v[0:1]
	v_add_f64 v[4:5], v[40:41], v[52:53]
	s_delay_alu instid0(VALU_DEP_1) | instskip(NEXT) | instid1(VALU_DEP_3)
	v_fma_f64 v[14:15], v[4:5], -0.5, v[2:3]
	v_fma_f64 v[4:5], v[16:17], s[18:19], v[12:13]
	v_fma_f64 v[12:13], v[16:17], s[20:21], v[12:13]
	s_delay_alu instid0(VALU_DEP_3) | instskip(SKIP_1) | instid1(VALU_DEP_4)
	v_fma_f64 v[6:7], v[20:21], s[20:21], v[14:15]
	v_fma_f64 v[14:15], v[20:21], s[18:19], v[14:15]
	;; [unrolled: 1-line block ×3, first 2 shown]
	s_delay_alu instid0(VALU_DEP_4) | instskip(NEXT) | instid1(VALU_DEP_4)
	v_fma_f64 v[12:13], v[18:19], s[14:15], v[12:13]
	v_fma_f64 v[6:7], v[22:23], s[14:15], v[6:7]
	s_delay_alu instid0(VALU_DEP_4) | instskip(NEXT) | instid1(VALU_DEP_4)
	v_fma_f64 v[14:15], v[22:23], s[16:17], v[14:15]
	v_fma_f64 v[4:5], v[8:9], s[12:13], v[4:5]
	s_delay_alu instid0(VALU_DEP_4) | instskip(SKIP_4) | instid1(VALU_DEP_4)
	v_fma_f64 v[8:9], v[8:9], s[12:13], v[12:13]
	v_add_f64 v[12:13], v[46:47], v[50:51]
	v_fma_f64 v[6:7], v[10:11], s[12:13], v[6:7]
	v_fma_f64 v[10:11], v[10:11], s[12:13], v[14:15]
	v_add_f64 v[14:15], v[44:45], v[48:49]
	v_fma_f64 v[12:13], v[12:13], -0.5, v[0:1]
	v_add_f64 v[0:1], v[0:1], v[42:43]
	s_delay_alu instid0(VALU_DEP_3) | instskip(SKIP_1) | instid1(VALU_DEP_4)
	v_fma_f64 v[14:15], v[14:15], -0.5, v[2:3]
	v_add_f64 v[2:3], v[2:3], v[40:41]
	v_fma_f64 v[26:27], v[18:19], s[20:21], v[12:13]
	v_fma_f64 v[12:13], v[18:19], s[18:19], v[12:13]
	v_add_f64 v[18:19], v[54:55], -v[50:51]
	v_add_f64 v[0:1], v[0:1], v[46:47]
	v_fma_f64 v[32:33], v[22:23], s[18:19], v[14:15]
	v_fma_f64 v[14:15], v[22:23], s[20:21], v[14:15]
	;; [unrolled: 1-line block ×4, first 2 shown]
	v_add_f64 v[18:19], v[24:25], v[18:19]
	v_add_f64 v[24:25], v[28:29], v[30:31]
	;; [unrolled: 1-line block ×4, first 2 shown]
	v_fma_f64 v[26:27], v[20:21], s[14:15], v[32:33]
	v_fma_f64 v[20:21], v[20:21], s[16:17], v[14:15]
	;; [unrolled: 1-line block ×4, first 2 shown]
	v_add_f64 v[2:3], v[2:3], v[48:49]
	v_add_f64 v[0:1], v[0:1], v[54:55]
	v_fma_f64 v[14:15], v[24:25], s[12:13], v[26:27]
	v_fma_f64 v[18:19], v[24:25], s[12:13], v[20:21]
	scratch_load_b32 v20, off, off offset:884 ; 4-byte Folded Reload
	v_add_f64 v[2:3], v[2:3], v[52:53]
	s_waitcnt vmcnt(0)
	ds_store_b128 v20, v[0:3]
	ds_store_b128 v20, v[12:15] offset:160
	ds_store_b128 v20, v[4:7] offset:320
	;; [unrolled: 1-line block ×4, first 2 shown]
	s_waitcnt lgkmcnt(0)
	s_barrier
	buffer_gl0_inv
	s_clause 0x2
	scratch_load_b128 v[6:9], off, off offset:852
	scratch_load_b128 v[14:17], off, off offset:836
	;; [unrolled: 1-line block ×3, first 2 shown]
	ds_load_b128 v[2:5], v94 offset:21600
	s_waitcnt vmcnt(2) lgkmcnt(0)
	v_mul_f64 v[0:1], v[8:9], v[4:5]
	s_delay_alu instid0(VALU_DEP_1) | instskip(SKIP_1) | instid1(VALU_DEP_1)
	v_fma_f64 v[0:1], v[6:7], v[2:3], v[0:1]
	v_mul_f64 v[2:3], v[8:9], v[2:3]
	v_fma_f64 v[2:3], v[6:7], v[4:5], -v[2:3]
	ds_load_b128 v[6:9], v94 offset:43200
	s_waitcnt vmcnt(0) lgkmcnt(0)
	v_mul_f64 v[4:5], v[12:13], v[8:9]
	s_delay_alu instid0(VALU_DEP_1) | instskip(SKIP_1) | instid1(VALU_DEP_1)
	v_fma_f64 v[4:5], v[10:11], v[6:7], v[4:5]
	v_mul_f64 v[6:7], v[12:13], v[6:7]
	v_fma_f64 v[6:7], v[10:11], v[8:9], -v[6:7]
	ds_load_b128 v[8:11], v94 offset:23760
	s_waitcnt lgkmcnt(0)
	v_mul_f64 v[12:13], v[16:17], v[10:11]
	s_delay_alu instid0(VALU_DEP_1) | instskip(SKIP_1) | instid1(VALU_DEP_1)
	v_fma_f64 v[88:89], v[14:15], v[8:9], v[12:13]
	v_mul_f64 v[8:9], v[16:17], v[8:9]
	v_fma_f64 v[90:91], v[14:15], v[10:11], -v[8:9]
	scratch_load_b128 v[14:17], off, off offset:676 ; 16-byte Folded Reload
	ds_load_b128 v[8:11], v94 offset:45360
	s_waitcnt vmcnt(0) lgkmcnt(0)
	v_mul_f64 v[12:13], v[16:17], v[10:11]
	s_delay_alu instid0(VALU_DEP_1) | instskip(SKIP_1) | instid1(VALU_DEP_1)
	v_fma_f64 v[92:93], v[14:15], v[8:9], v[12:13]
	v_mul_f64 v[8:9], v[16:17], v[8:9]
	v_fma_f64 v[95:96], v[14:15], v[10:11], -v[8:9]
	scratch_load_b128 v[14:17], off, off offset:804 ; 16-byte Folded Reload
	ds_load_b128 v[8:11], v94 offset:25920
	s_waitcnt vmcnt(0) lgkmcnt(0)
	;; [unrolled: 8-line block ×17, first 2 shown]
	v_mul_f64 v[12:13], v[16:17], v[10:11]
	s_delay_alu instid0(VALU_DEP_1) | instskip(SKIP_2) | instid1(VALU_DEP_2)
	v_fma_f64 v[30:31], v[14:15], v[8:9], v[12:13]
	v_mul_f64 v[8:9], v[16:17], v[8:9]
	v_add_f64 v[12:13], v[0:1], v[4:5]
	v_fma_f64 v[36:37], v[14:15], v[10:11], -v[8:9]
	v_add_f64 v[14:15], v[2:3], v[6:7]
	ds_load_b128 v[8:11], v94
	s_waitcnt lgkmcnt(0)
	v_fma_f64 v[12:13], v[12:13], -0.5, v[8:9]
	v_add_f64 v[8:9], v[8:9], v[0:1]
	v_add_f64 v[0:1], v[0:1], -v[4:5]
	v_fma_f64 v[14:15], v[14:15], -0.5, v[10:11]
	v_add_f64 v[10:11], v[10:11], v[2:3]
	v_add_f64 v[2:3], v[2:3], -v[6:7]
	v_add_f64 v[97:98], v[8:9], v[4:5]
	s_delay_alu instid0(VALU_DEP_4) | instskip(NEXT) | instid1(VALU_DEP_4)
	v_fma_f64 v[103:104], v[0:1], s[8:9], v[14:15]
	v_add_f64 v[99:100], v[10:11], v[6:7]
	s_delay_alu instid0(VALU_DEP_4)
	v_fma_f64 v[101:102], v[2:3], s[2:3], v[12:13]
	v_fma_f64 v[105:106], v[2:3], s[8:9], v[12:13]
	;; [unrolled: 1-line block ×3, first 2 shown]
	ds_load_b128 v[109:112], v94 offset:2160
	ds_load_b128 v[113:116], v94 offset:4320
	;; [unrolled: 1-line block ×9, first 2 shown]
	s_waitcnt lgkmcnt(0)
	s_barrier
	buffer_gl0_inv
	scratch_load_b32 v121, off, off offset:560 ; 4-byte Folded Reload
	s_waitcnt vmcnt(0)
	ds_store_b128 v121, v[97:100]
	ds_store_b128 v121, v[101:104] offset:800
	ds_store_b128 v121, v[105:108] offset:1600
	v_add_f64 v[97:98], v[88:89], v[92:93]
	v_add_f64 v[103:104], v[109:110], v[88:89]
	s_delay_alu instid0(VALU_DEP_2) | instskip(SKIP_1) | instid1(VALU_DEP_1)
	v_fma_f64 v[99:100], v[97:98], -0.5, v[109:110]
	v_add_f64 v[97:98], v[90:91], v[95:96]
	v_fma_f64 v[101:102], v[97:98], -0.5, v[111:112]
	v_add_f64 v[97:98], v[111:112], v[90:91]
	v_add_f64 v[90:91], v[90:91], -v[95:96]
	s_delay_alu instid0(VALU_DEP_2) | instskip(SKIP_2) | instid1(VALU_DEP_4)
	v_add_f64 v[97:98], v[97:98], v[95:96]
	v_add_f64 v[95:96], v[103:104], v[92:93]
	v_add_f64 v[92:93], v[88:89], -v[92:93]
	v_fma_f64 v[88:89], v[90:91], s[2:3], v[99:100]
	v_fma_f64 v[99:100], v[90:91], s[8:9], v[99:100]
	s_delay_alu instid0(VALU_DEP_3)
	v_fma_f64 v[90:91], v[92:93], s[8:9], v[101:102]
	v_fma_f64 v[101:102], v[92:93], s[2:3], v[101:102]
	scratch_load_b32 v92, off, off offset:556 ; 4-byte Folded Reload
	s_waitcnt vmcnt(0)
	ds_store_b128 v92, v[95:98]
	ds_store_b128 v92, v[88:91] offset:800
	ds_store_b128 v92, v[99:102] offset:1600
	v_add_f64 v[88:89], v[76:77], v[82:83]
	v_add_f64 v[95:96], v[113:114], v[76:77]
	v_add_f64 v[76:77], v[76:77], -v[82:83]
	v_add_f64 v[97:98], v[80:81], -v[86:87]
	s_delay_alu instid0(VALU_DEP_4) | instskip(SKIP_1) | instid1(VALU_DEP_1)
	v_fma_f64 v[90:91], v[88:89], -0.5, v[113:114]
	v_add_f64 v[88:89], v[80:81], v[86:87]
	v_fma_f64 v[92:93], v[88:89], -0.5, v[115:116]
	v_add_f64 v[88:89], v[115:116], v[80:81]
	s_delay_alu instid0(VALU_DEP_4) | instskip(SKIP_1) | instid1(VALU_DEP_3)
	v_fma_f64 v[80:81], v[97:98], s[2:3], v[90:91]
	v_fma_f64 v[90:91], v[97:98], s[8:9], v[90:91]
	v_add_f64 v[88:89], v[88:89], v[86:87]
	v_add_f64 v[86:87], v[95:96], v[82:83]
	v_fma_f64 v[82:83], v[76:77], s[8:9], v[92:93]
	v_fma_f64 v[92:93], v[76:77], s[2:3], v[92:93]
	scratch_load_b32 v76, off, off offset:552 ; 4-byte Folded Reload
	s_waitcnt vmcnt(0)
	ds_store_b128 v76, v[86:89]
	ds_store_b128 v76, v[80:83] offset:800
	ds_store_b128 v76, v[90:93] offset:1600
	v_add_f64 v[76:77], v[72:73], v[78:79]
	v_add_f64 v[82:83], v[117:118], v[72:73]
	v_add_f64 v[88:89], v[74:75], -v[84:85]
	v_add_f64 v[72:73], v[72:73], -v[78:79]
	s_delay_alu instid0(VALU_DEP_4) | instskip(SKIP_1) | instid1(VALU_DEP_1)
	v_fma_f64 v[80:81], v[76:77], -0.5, v[117:118]
	v_add_f64 v[76:77], v[74:75], v[84:85]
	v_fma_f64 v[86:87], v[76:77], -0.5, v[119:120]
	v_add_f64 v[76:77], v[119:120], v[74:75]
	v_add_f64 v[74:75], v[82:83], v[78:79]
	v_fma_f64 v[78:79], v[88:89], s[2:3], v[80:81]
	v_fma_f64 v[82:83], v[88:89], s[8:9], v[80:81]
	;; [unrolled: 1-line block ×3, first 2 shown]
	v_add_f64 v[76:77], v[76:77], v[84:85]
	v_fma_f64 v[84:85], v[72:73], s[2:3], v[86:87]
	scratch_load_b32 v72, off, off offset:548 ; 4-byte Folded Reload
	s_waitcnt vmcnt(0)
	ds_store_b128 v72, v[74:77]
	ds_store_b128 v72, v[78:81] offset:800
	ds_store_b128 v72, v[82:85] offset:1600
	v_add_f64 v[72:73], v[60:61], v[66:67]
	v_add_f64 v[74:75], v[64:65], v[70:71]
	v_add_f64 v[76:77], v[64:65], -v[70:71]
	s_delay_alu instid0(VALU_DEP_3) | instskip(NEXT) | instid1(VALU_DEP_3)
	v_fma_f64 v[72:73], v[72:73], -0.5, v[20:21]
	v_fma_f64 v[74:75], v[74:75], -0.5, v[22:23]
	v_add_f64 v[22:23], v[22:23], v[64:65]
	v_add_f64 v[20:21], v[20:21], v[60:61]
	v_add_f64 v[60:61], v[60:61], -v[66:67]
	v_fma_f64 v[64:65], v[76:77], s[2:3], v[72:73]
	s_delay_alu instid0(VALU_DEP_4) | instskip(NEXT) | instid1(VALU_DEP_4)
	v_add_f64 v[22:23], v[22:23], v[70:71]
	v_add_f64 v[20:21], v[20:21], v[66:67]
	v_fma_f64 v[70:71], v[76:77], s[8:9], v[72:73]
	v_fma_f64 v[66:67], v[60:61], s[8:9], v[74:75]
	;; [unrolled: 1-line block ×3, first 2 shown]
	scratch_load_b32 v60, off, off offset:544 ; 4-byte Folded Reload
	s_waitcnt vmcnt(0)
	ds_store_b128 v60, v[20:23]
	ds_store_b128 v60, v[64:67] offset:800
	ds_store_b128 v60, v[70:73] offset:1600
	v_add_f64 v[20:21], v[56:57], v[62:63]
	s_delay_alu instid0(VALU_DEP_1) | instskip(SKIP_2) | instid1(VALU_DEP_2)
	v_fma_f64 v[22:23], v[20:21], -0.5, v[16:17]
	v_add_f64 v[20:21], v[58:59], v[68:69]
	v_add_f64 v[16:17], v[16:17], v[56:57]
	v_fma_f64 v[60:61], v[20:21], -0.5, v[18:19]
	v_add_f64 v[18:19], v[18:19], v[58:59]
	v_add_f64 v[58:59], v[58:59], -v[68:69]
	s_delay_alu instid0(VALU_DEP_4) | instskip(SKIP_1) | instid1(VALU_DEP_4)
	v_add_f64 v[16:17], v[16:17], v[62:63]
	v_add_f64 v[62:63], v[56:57], -v[62:63]
	v_add_f64 v[18:19], v[18:19], v[68:69]
	s_delay_alu instid0(VALU_DEP_4) | instskip(SKIP_1) | instid1(VALU_DEP_4)
	v_fma_f64 v[20:21], v[58:59], s[2:3], v[22:23]
	v_fma_f64 v[56:57], v[58:59], s[8:9], v[22:23]
	;; [unrolled: 1-line block ×4, first 2 shown]
	scratch_load_b32 v60, off, off offset:540 ; 4-byte Folded Reload
	s_waitcnt vmcnt(0)
	ds_store_b128 v60, v[16:19]
	ds_store_b128 v60, v[20:23] offset:800
	ds_store_b128 v60, v[56:59] offset:1600
	v_add_f64 v[16:17], v[44:45], v[50:51]
	v_add_f64 v[20:21], v[48:49], -v[54:55]
	s_delay_alu instid0(VALU_DEP_2) | instskip(SKIP_3) | instid1(VALU_DEP_3)
	v_fma_f64 v[18:19], v[16:17], -0.5, v[12:13]
	v_add_f64 v[16:17], v[48:49], v[54:55]
	v_add_f64 v[12:13], v[12:13], v[44:45]
	v_add_f64 v[44:45], v[44:45], -v[50:51]
	v_fma_f64 v[22:23], v[16:17], -0.5, v[14:15]
	v_fma_f64 v[16:17], v[20:21], s[2:3], v[18:19]
	v_fma_f64 v[20:21], v[20:21], s[8:9], v[18:19]
	v_add_f64 v[14:15], v[14:15], v[48:49]
	v_add_f64 v[12:13], v[12:13], v[50:51]
	v_fma_f64 v[18:19], v[44:45], s[8:9], v[22:23]
	v_fma_f64 v[22:23], v[44:45], s[2:3], v[22:23]
	scratch_load_b32 v44, off, off offset:536 ; 4-byte Folded Reload
	v_add_f64 v[14:15], v[14:15], v[54:55]
	s_waitcnt vmcnt(0)
	ds_store_b128 v44, v[12:15]
	ds_store_b128 v44, v[16:19] offset:800
	ds_store_b128 v44, v[20:23] offset:1600
	v_add_f64 v[12:13], v[40:41], v[46:47]
	v_add_f64 v[16:17], v[42:43], -v[52:53]
	v_add_f64 v[20:21], v[40:41], -v[46:47]
	s_delay_alu instid0(VALU_DEP_3) | instskip(SKIP_2) | instid1(VALU_DEP_2)
	v_fma_f64 v[14:15], v[12:13], -0.5, v[8:9]
	v_add_f64 v[12:13], v[42:43], v[52:53]
	v_add_f64 v[8:9], v[8:9], v[40:41]
	v_fma_f64 v[18:19], v[12:13], -0.5, v[10:11]
	s_delay_alu instid0(VALU_DEP_4)
	v_fma_f64 v[12:13], v[16:17], s[2:3], v[14:15]
	v_fma_f64 v[16:17], v[16:17], s[8:9], v[14:15]
	v_add_f64 v[10:11], v[10:11], v[42:43]
	v_add_f64 v[8:9], v[8:9], v[46:47]
	v_fma_f64 v[14:15], v[20:21], s[8:9], v[18:19]
	v_fma_f64 v[18:19], v[20:21], s[2:3], v[18:19]
	scratch_load_b32 v20, off, off offset:532 ; 4-byte Folded Reload
	v_add_f64 v[10:11], v[10:11], v[52:53]
	s_waitcnt vmcnt(0)
	ds_store_b128 v20, v[8:11]
	ds_store_b128 v20, v[12:15] offset:800
	ds_store_b128 v20, v[16:19] offset:1600
	v_add_f64 v[8:9], v[28:29], v[34:35]
	v_add_f64 v[12:13], v[32:33], -v[38:39]
	v_add_f64 v[16:17], v[28:29], -v[34:35]
	s_delay_alu instid0(VALU_DEP_3) | instskip(SKIP_2) | instid1(VALU_DEP_2)
	v_fma_f64 v[10:11], v[8:9], -0.5, v[4:5]
	v_add_f64 v[8:9], v[32:33], v[38:39]
	v_add_f64 v[4:5], v[4:5], v[28:29]
	v_fma_f64 v[14:15], v[8:9], -0.5, v[6:7]
	s_delay_alu instid0(VALU_DEP_4)
	;; [unrolled: 21-line block ×3, first 2 shown]
	v_fma_f64 v[4:5], v[8:9], s[2:3], v[6:7]
	v_fma_f64 v[8:9], v[8:9], s[8:9], v[6:7]
	v_add_f64 v[2:3], v[2:3], v[26:27]
	v_add_f64 v[0:1], v[0:1], v[30:31]
	v_fma_f64 v[6:7], v[12:13], s[8:9], v[10:11]
	v_fma_f64 v[10:11], v[12:13], s[2:3], v[10:11]
	scratch_load_b32 v12, off, off offset:524 ; 4-byte Folded Reload
	v_add_f64 v[2:3], v[2:3], v[36:37]
	s_waitcnt vmcnt(0)
	ds_store_b128 v12, v[0:3]
	ds_store_b128 v12, v[4:7] offset:800
	ds_store_b128 v12, v[8:11] offset:1600
	s_waitcnt lgkmcnt(0)
	s_barrier
	buffer_gl0_inv
	s_clause 0x4
	scratch_load_b128 v[6:9], off, off offset:492
	scratch_load_b128 v[10:13], off, off offset:508
	;; [unrolled: 1-line block ×5, first 2 shown]
	ds_load_b128 v[2:5], v94 offset:21600
	s_clause 0x1
	scratch_load_b128 v[22:25], off, off offset:1484
	scratch_load_b128 v[80:83], off, off offset:1468
	s_waitcnt vmcnt(6) lgkmcnt(0)
	v_mul_f64 v[0:1], v[8:9], v[4:5]
	s_delay_alu instid0(VALU_DEP_1) | instskip(SKIP_1) | instid1(VALU_DEP_1)
	v_fma_f64 v[0:1], v[6:7], v[2:3], v[0:1]
	v_mul_f64 v[2:3], v[8:9], v[2:3]
	v_fma_f64 v[2:3], v[6:7], v[4:5], -v[2:3]
	ds_load_b128 v[6:9], v94 offset:43200
	s_waitcnt vmcnt(5) lgkmcnt(0)
	v_mul_f64 v[4:5], v[12:13], v[8:9]
	s_delay_alu instid0(VALU_DEP_1) | instskip(SKIP_1) | instid1(VALU_DEP_1)
	v_fma_f64 v[4:5], v[10:11], v[6:7], v[4:5]
	v_mul_f64 v[6:7], v[12:13], v[6:7]
	v_fma_f64 v[6:7], v[10:11], v[8:9], -v[6:7]
	ds_load_b128 v[8:11], v94 offset:23760
	;; [unrolled: 7-line block ×3, first 2 shown]
	s_waitcnt vmcnt(3) lgkmcnt(0)
	v_mul_f64 v[16:17], v[20:21], v[10:11]
	s_delay_alu instid0(VALU_DEP_1) | instskip(SKIP_1) | instid1(VALU_DEP_1)
	v_fma_f64 v[92:93], v[18:19], v[8:9], v[16:17]
	v_mul_f64 v[8:9], v[20:21], v[8:9]
	v_fma_f64 v[95:96], v[18:19], v[10:11], -v[8:9]
	scratch_load_b128 v[18:21], off, off offset:1676 ; 16-byte Folded Reload
	ds_load_b128 v[8:11], v94 offset:25920
	s_waitcnt vmcnt(0) lgkmcnt(0)
	v_mul_f64 v[16:17], v[20:21], v[10:11]
	s_delay_alu instid0(VALU_DEP_1) | instskip(SKIP_1) | instid1(VALU_DEP_1)
	v_fma_f64 v[68:69], v[18:19], v[8:9], v[16:17]
	v_mul_f64 v[8:9], v[20:21], v[8:9]
	v_fma_f64 v[72:73], v[18:19], v[10:11], -v[8:9]
	scratch_load_b128 v[18:21], off, off offset:1692 ; 16-byte Folded Reload
	ds_load_b128 v[8:11], v94 offset:47520
	;; [unrolled: 8-line block ×12, first 2 shown]
	s_waitcnt vmcnt(0) lgkmcnt(0)
	v_mul_f64 v[16:17], v[20:21], v[10:11]
	s_delay_alu instid0(VALU_DEP_1) | instskip(SKIP_1) | instid1(VALU_DEP_1)
	v_fma_f64 v[38:39], v[18:19], v[8:9], v[16:17]
	v_mul_f64 v[8:9], v[20:21], v[8:9]
	v_fma_f64 v[44:45], v[18:19], v[10:11], -v[8:9]
	ds_load_b128 v[8:11], v94 offset:38880
	s_waitcnt lgkmcnt(0)
	v_mul_f64 v[16:17], v[24:25], v[10:11]
	s_delay_alu instid0(VALU_DEP_1) | instskip(SKIP_1) | instid1(VALU_DEP_1)
	v_fma_f64 v[20:21], v[22:23], v[8:9], v[16:17]
	v_mul_f64 v[8:9], v[24:25], v[8:9]
	v_fma_f64 v[24:25], v[22:23], v[10:11], -v[8:9]
	ds_load_b128 v[8:11], v94 offset:60480
	s_waitcnt lgkmcnt(0)
	;; [unrolled: 7-line block ×3, first 2 shown]
	v_mul_f64 v[16:17], v[82:83], v[10:11]
	s_delay_alu instid0(VALU_DEP_1) | instskip(SKIP_1) | instid1(VALU_DEP_1)
	v_fma_f64 v[16:17], v[80:81], v[8:9], v[16:17]
	v_mul_f64 v[8:9], v[82:83], v[8:9]
	v_fma_f64 v[18:19], v[80:81], v[10:11], -v[8:9]
	scratch_load_b128 v[80:83], off, off offset:1436 ; 16-byte Folded Reload
	ds_load_b128 v[8:11], v94 offset:62640
	s_waitcnt vmcnt(0) lgkmcnt(0)
	v_mul_f64 v[22:23], v[82:83], v[10:11]
	s_delay_alu instid0(VALU_DEP_1) | instskip(SKIP_1) | instid1(VALU_DEP_1)
	v_fma_f64 v[22:23], v[80:81], v[8:9], v[22:23]
	v_mul_f64 v[8:9], v[82:83], v[8:9]
	v_fma_f64 v[28:29], v[80:81], v[10:11], -v[8:9]
	v_add_f64 v[80:81], v[0:1], v[4:5]
	ds_load_b128 v[8:11], v94
	s_waitcnt lgkmcnt(0)
	v_fma_f64 v[86:87], v[80:81], -0.5, v[8:9]
	v_add_f64 v[80:81], v[2:3], v[6:7]
	v_add_f64 v[8:9], v[8:9], v[0:1]
	v_add_f64 v[0:1], v[0:1], -v[4:5]
	s_delay_alu instid0(VALU_DEP_3)
	v_fma_f64 v[90:91], v[80:81], -0.5, v[10:11]
	v_add_f64 v[10:11], v[10:11], v[2:3]
	v_add_f64 v[2:3], v[2:3], -v[6:7]
	v_add_f64 v[80:81], v[8:9], v[4:5]
	v_add_f64 v[4:5], v[12:13], v[92:93]
	v_add_f64 v[8:9], v[14:15], -v[95:96]
	v_add_f64 v[82:83], v[10:11], v[6:7]
	v_add_f64 v[6:7], v[14:15], v[95:96]
	v_fma_f64 v[84:85], v[2:3], s[2:3], v[86:87]
	v_fma_f64 v[88:89], v[2:3], s[8:9], v[86:87]
	;; [unrolled: 1-line block ×4, first 2 shown]
	ds_load_b128 v[0:3], v94 offset:2160
	s_waitcnt lgkmcnt(0)
	v_fma_f64 v[4:5], v[4:5], -0.5, v[0:1]
	v_add_f64 v[0:1], v[0:1], v[12:13]
	v_fma_f64 v[6:7], v[6:7], -0.5, v[2:3]
	v_add_f64 v[2:3], v[2:3], v[14:15]
	s_delay_alu instid0(VALU_DEP_4) | instskip(SKIP_1) | instid1(VALU_DEP_3)
	v_fma_f64 v[99:100], v[8:9], s[2:3], v[4:5]
	v_fma_f64 v[103:104], v[8:9], s[8:9], v[4:5]
	v_add_f64 v[97:98], v[2:3], v[95:96]
	v_add_f64 v[95:96], v[0:1], v[92:93]
	v_add_f64 v[0:1], v[12:13], -v[92:93]
	s_delay_alu instid0(VALU_DEP_1)
	v_fma_f64 v[101:102], v[0:1], s[8:9], v[6:7]
	v_fma_f64 v[105:106], v[0:1], s[2:3], v[6:7]
	ds_load_b128 v[107:110], v94 offset:4320
	ds_load_b128 v[111:114], v94 offset:6480
	;; [unrolled: 1-line block ×8, first 2 shown]
	s_waitcnt lgkmcnt(0)
	s_barrier
	buffer_gl0_inv
	ds_store_b128 v94, v[80:83]
	ds_store_b128 v94, v[84:87] offset:2400
	ds_store_b128 v94, v[88:91] offset:4800
	scratch_load_b32 v80, off, off offset:1432 ; 4-byte Folded Reload
	s_waitcnt vmcnt(0)
	ds_store_b128 v80, v[95:98]
	ds_store_b128 v80, v[99:102] offset:2400
	ds_store_b128 v80, v[103:106] offset:4800
	v_add_f64 v[80:81], v[68:69], v[74:75]
	v_add_f64 v[86:87], v[107:108], v[68:69]
	v_add_f64 v[68:69], v[68:69], -v[74:75]
	v_add_f64 v[88:89], v[72:73], -v[78:79]
	s_delay_alu instid0(VALU_DEP_4) | instskip(SKIP_1) | instid1(VALU_DEP_1)
	v_fma_f64 v[82:83], v[80:81], -0.5, v[107:108]
	v_add_f64 v[80:81], v[72:73], v[78:79]
	v_fma_f64 v[84:85], v[80:81], -0.5, v[109:110]
	v_add_f64 v[80:81], v[109:110], v[72:73]
	s_delay_alu instid0(VALU_DEP_4) | instskip(SKIP_1) | instid1(VALU_DEP_3)
	v_fma_f64 v[72:73], v[88:89], s[2:3], v[82:83]
	v_fma_f64 v[82:83], v[88:89], s[8:9], v[82:83]
	v_add_f64 v[80:81], v[80:81], v[78:79]
	v_add_f64 v[78:79], v[86:87], v[74:75]
	v_fma_f64 v[74:75], v[68:69], s[8:9], v[84:85]
	v_fma_f64 v[84:85], v[68:69], s[2:3], v[84:85]
	scratch_load_b32 v68, off, off offset:1428 ; 4-byte Folded Reload
	s_waitcnt vmcnt(0)
	ds_store_b128 v68, v[78:81]
	ds_store_b128 v68, v[72:75] offset:2400
	ds_store_b128 v68, v[82:85] offset:4800
	v_add_f64 v[68:69], v[64:65], v[70:71]
	v_add_f64 v[74:75], v[111:112], v[64:65]
	v_add_f64 v[80:81], v[66:67], -v[76:77]
	v_add_f64 v[64:65], v[64:65], -v[70:71]
	s_delay_alu instid0(VALU_DEP_4) | instskip(SKIP_1) | instid1(VALU_DEP_1)
	v_fma_f64 v[72:73], v[68:69], -0.5, v[111:112]
	v_add_f64 v[68:69], v[66:67], v[76:77]
	v_fma_f64 v[78:79], v[68:69], -0.5, v[113:114]
	v_add_f64 v[68:69], v[113:114], v[66:67]
	v_add_f64 v[66:67], v[74:75], v[70:71]
	v_fma_f64 v[70:71], v[80:81], s[2:3], v[72:73]
	v_fma_f64 v[74:75], v[80:81], s[8:9], v[72:73]
	v_fma_f64 v[72:73], v[64:65], s[8:9], v[78:79]
	v_add_f64 v[68:69], v[68:69], v[76:77]
	v_fma_f64 v[76:77], v[64:65], s[2:3], v[78:79]
	scratch_load_b32 v64, off, off offset:1424 ; 4-byte Folded Reload
	s_waitcnt vmcnt(0)
	ds_store_b128 v64, v[66:69]
	ds_store_b128 v64, v[70:73] offset:2400
	ds_store_b128 v64, v[74:77] offset:4800
	v_add_f64 v[64:65], v[52:53], v[58:59]
	v_add_f64 v[70:71], v[115:116], v[52:53]
	v_add_f64 v[52:53], v[52:53], -v[58:59]
	v_add_f64 v[72:73], v[56:57], -v[62:63]
	s_delay_alu instid0(VALU_DEP_4) | instskip(SKIP_1) | instid1(VALU_DEP_1)
	v_fma_f64 v[66:67], v[64:65], -0.5, v[115:116]
	v_add_f64 v[64:65], v[56:57], v[62:63]
	v_fma_f64 v[68:69], v[64:65], -0.5, v[117:118]
	v_add_f64 v[64:65], v[117:118], v[56:57]
	s_delay_alu instid0(VALU_DEP_4) | instskip(SKIP_1) | instid1(VALU_DEP_3)
	v_fma_f64 v[56:57], v[72:73], s[2:3], v[66:67]
	v_fma_f64 v[66:67], v[72:73], s[8:9], v[66:67]
	v_add_f64 v[64:65], v[64:65], v[62:63]
	v_add_f64 v[62:63], v[70:71], v[58:59]
	v_fma_f64 v[58:59], v[52:53], s[8:9], v[68:69]
	v_fma_f64 v[68:69], v[52:53], s[2:3], v[68:69]
	scratch_load_b32 v52, off, off offset:1420 ; 4-byte Folded Reload
	s_waitcnt vmcnt(0)
	ds_store_b128 v52, v[62:65]
	ds_store_b128 v52, v[56:59] offset:2400
	ds_store_b128 v52, v[66:69] offset:4800
	v_add_f64 v[52:53], v[48:49], v[54:55]
	v_add_f64 v[58:59], v[119:120], v[48:49]
	v_add_f64 v[64:65], v[50:51], -v[60:61]
	v_add_f64 v[48:49], v[48:49], -v[54:55]
	s_delay_alu instid0(VALU_DEP_4) | instskip(SKIP_1) | instid1(VALU_DEP_1)
	v_fma_f64 v[56:57], v[52:53], -0.5, v[119:120]
	v_add_f64 v[52:53], v[50:51], v[60:61]
	v_fma_f64 v[62:63], v[52:53], -0.5, v[121:122]
	v_add_f64 v[52:53], v[121:122], v[50:51]
	v_add_f64 v[50:51], v[58:59], v[54:55]
	v_fma_f64 v[54:55], v[64:65], s[2:3], v[56:57]
	v_fma_f64 v[58:59], v[64:65], s[8:9], v[56:57]
	;; [unrolled: 1-line block ×3, first 2 shown]
	v_add_f64 v[52:53], v[52:53], v[60:61]
	v_fma_f64 v[60:61], v[48:49], s[2:3], v[62:63]
	scratch_load_b32 v48, off, off offset:1416 ; 4-byte Folded Reload
	s_waitcnt vmcnt(0)
	ds_store_b128 v48, v[50:53]
	ds_store_b128 v48, v[54:57] offset:2400
	ds_store_b128 v48, v[58:61] offset:4800
	v_add_f64 v[48:49], v[36:37], v[42:43]
	v_add_f64 v[50:51], v[40:41], v[46:47]
	v_add_f64 v[52:53], v[40:41], -v[46:47]
	s_delay_alu instid0(VALU_DEP_3) | instskip(NEXT) | instid1(VALU_DEP_3)
	v_fma_f64 v[48:49], v[48:49], -0.5, v[12:13]
	v_fma_f64 v[50:51], v[50:51], -0.5, v[14:15]
	v_add_f64 v[14:15], v[14:15], v[40:41]
	v_add_f64 v[12:13], v[12:13], v[36:37]
	v_add_f64 v[36:37], v[36:37], -v[42:43]
	v_fma_f64 v[40:41], v[52:53], s[2:3], v[48:49]
	s_delay_alu instid0(VALU_DEP_4) | instskip(NEXT) | instid1(VALU_DEP_4)
	v_add_f64 v[14:15], v[14:15], v[46:47]
	v_add_f64 v[12:13], v[12:13], v[42:43]
	v_fma_f64 v[46:47], v[52:53], s[8:9], v[48:49]
	v_fma_f64 v[42:43], v[36:37], s[8:9], v[50:51]
	;; [unrolled: 1-line block ×3, first 2 shown]
	scratch_load_b32 v36, off, off offset:1412 ; 4-byte Folded Reload
	s_waitcnt vmcnt(0)
	ds_store_b128 v36, v[12:15]
	ds_store_b128 v36, v[40:43] offset:2400
	ds_store_b128 v36, v[46:49] offset:4800
	v_add_f64 v[12:13], v[32:33], v[38:39]
	s_delay_alu instid0(VALU_DEP_1) | instskip(SKIP_2) | instid1(VALU_DEP_2)
	v_fma_f64 v[14:15], v[12:13], -0.5, v[8:9]
	v_add_f64 v[12:13], v[34:35], v[44:45]
	v_add_f64 v[8:9], v[8:9], v[32:33]
	v_fma_f64 v[36:37], v[12:13], -0.5, v[10:11]
	v_add_f64 v[10:11], v[10:11], v[34:35]
	v_add_f64 v[34:35], v[34:35], -v[44:45]
	s_delay_alu instid0(VALU_DEP_4) | instskip(SKIP_1) | instid1(VALU_DEP_4)
	v_add_f64 v[8:9], v[8:9], v[38:39]
	v_add_f64 v[38:39], v[32:33], -v[38:39]
	v_add_f64 v[10:11], v[10:11], v[44:45]
	s_delay_alu instid0(VALU_DEP_4) | instskip(SKIP_1) | instid1(VALU_DEP_4)
	v_fma_f64 v[12:13], v[34:35], s[2:3], v[14:15]
	v_fma_f64 v[32:33], v[34:35], s[8:9], v[14:15]
	;; [unrolled: 1-line block ×4, first 2 shown]
	scratch_load_b32 v36, off, off offset:1404 ; 4-byte Folded Reload
	s_waitcnt vmcnt(0)
	ds_store_b128 v36, v[8:11]
	ds_store_b128 v36, v[12:15] offset:2400
	ds_store_b128 v36, v[32:35] offset:4800
	v_add_f64 v[8:9], v[20:21], v[26:27]
	v_add_f64 v[12:13], v[24:25], -v[30:31]
	s_delay_alu instid0(VALU_DEP_2) | instskip(SKIP_3) | instid1(VALU_DEP_3)
	v_fma_f64 v[10:11], v[8:9], -0.5, v[4:5]
	v_add_f64 v[8:9], v[24:25], v[30:31]
	v_add_f64 v[4:5], v[4:5], v[20:21]
	v_add_f64 v[20:21], v[20:21], -v[26:27]
	v_fma_f64 v[14:15], v[8:9], -0.5, v[6:7]
	v_fma_f64 v[8:9], v[12:13], s[2:3], v[10:11]
	v_fma_f64 v[12:13], v[12:13], s[8:9], v[10:11]
	v_add_f64 v[6:7], v[6:7], v[24:25]
	v_add_f64 v[4:5], v[4:5], v[26:27]
	v_fma_f64 v[10:11], v[20:21], s[8:9], v[14:15]
	v_fma_f64 v[14:15], v[20:21], s[2:3], v[14:15]
	scratch_load_b32 v20, off, off offset:1400 ; 4-byte Folded Reload
	v_add_f64 v[6:7], v[6:7], v[30:31]
	s_waitcnt vmcnt(0)
	ds_store_b128 v20, v[4:7]
	ds_store_b128 v20, v[8:11] offset:2400
	ds_store_b128 v20, v[12:15] offset:4800
	v_add_f64 v[4:5], v[16:17], v[22:23]
	v_add_f64 v[8:9], v[18:19], -v[28:29]
	v_add_f64 v[12:13], v[16:17], -v[22:23]
	s_delay_alu instid0(VALU_DEP_3) | instskip(SKIP_2) | instid1(VALU_DEP_2)
	v_fma_f64 v[6:7], v[4:5], -0.5, v[0:1]
	v_add_f64 v[4:5], v[18:19], v[28:29]
	v_add_f64 v[0:1], v[0:1], v[16:17]
	v_fma_f64 v[10:11], v[4:5], -0.5, v[2:3]
	s_delay_alu instid0(VALU_DEP_4)
	v_fma_f64 v[4:5], v[8:9], s[2:3], v[6:7]
	v_fma_f64 v[8:9], v[8:9], s[8:9], v[6:7]
	v_add_f64 v[2:3], v[2:3], v[18:19]
	v_add_f64 v[0:1], v[0:1], v[22:23]
	v_fma_f64 v[6:7], v[12:13], s[8:9], v[10:11]
	v_fma_f64 v[10:11], v[12:13], s[2:3], v[10:11]
	scratch_load_b32 v12, off, off offset:1396 ; 4-byte Folded Reload
	v_add_f64 v[2:3], v[2:3], v[28:29]
	s_waitcnt vmcnt(0)
	ds_store_b128 v12, v[0:3] offset:57600
	ds_store_b128 v12, v[4:7] offset:60000
	;; [unrolled: 1-line block ×3, first 2 shown]
	s_waitcnt lgkmcnt(0)
	s_barrier
	buffer_gl0_inv
	s_clause 0x2
	scratch_load_b128 v[6:9], off, off offset:1364
	scratch_load_b128 v[14:17], off, off offset:1344
	;; [unrolled: 1-line block ×3, first 2 shown]
	ds_load_b128 v[2:5], v94 offset:21600
	ds_load_b128 v[24:27], v94 offset:41040
	;; [unrolled: 1-line block ×3, first 2 shown]
	s_waitcnt vmcnt(2) lgkmcnt(2)
	v_mul_f64 v[0:1], v[8:9], v[4:5]
	s_delay_alu instid0(VALU_DEP_1) | instskip(SKIP_1) | instid1(VALU_DEP_1)
	v_fma_f64 v[0:1], v[6:7], v[2:3], v[0:1]
	v_mul_f64 v[2:3], v[8:9], v[2:3]
	v_fma_f64 v[2:3], v[6:7], v[4:5], -v[2:3]
	ds_load_b128 v[6:9], v94 offset:43200
	s_waitcnt vmcnt(0) lgkmcnt(0)
	v_mul_f64 v[4:5], v[12:13], v[8:9]
	s_delay_alu instid0(VALU_DEP_1) | instskip(SKIP_1) | instid1(VALU_DEP_2)
	v_fma_f64 v[4:5], v[10:11], v[6:7], v[4:5]
	v_mul_f64 v[6:7], v[12:13], v[6:7]
	v_add_f64 v[60:61], v[0:1], v[4:5]
	s_delay_alu instid0(VALU_DEP_2) | instskip(SKIP_3) | instid1(VALU_DEP_1)
	v_fma_f64 v[6:7], v[10:11], v[8:9], -v[6:7]
	ds_load_b128 v[8:11], v94 offset:23760
	s_waitcnt lgkmcnt(0)
	v_mul_f64 v[12:13], v[16:17], v[10:11]
	v_fma_f64 v[72:73], v[14:15], v[8:9], v[12:13]
	v_mul_f64 v[8:9], v[16:17], v[8:9]
	s_delay_alu instid0(VALU_DEP_1) | instskip(SKIP_4) | instid1(VALU_DEP_1)
	v_fma_f64 v[68:69], v[14:15], v[10:11], -v[8:9]
	scratch_load_b128 v[14:17], off, off offset:1296 ; 16-byte Folded Reload
	ds_load_b128 v[8:11], v94 offset:45360
	s_waitcnt vmcnt(0) lgkmcnt(0)
	v_mul_f64 v[12:13], v[16:17], v[10:11]
	v_fma_f64 v[74:75], v[14:15], v[8:9], v[12:13]
	v_mul_f64 v[8:9], v[16:17], v[8:9]
	s_delay_alu instid0(VALU_DEP_1)
	v_fma_f64 v[70:71], v[14:15], v[10:11], -v[8:9]
	scratch_load_b128 v[14:17], off, off offset:1312 ; 16-byte Folded Reload
	ds_load_b128 v[8:11], v94 offset:25920
	v_add_f64 v[76:77], v[68:69], -v[70:71]
	s_waitcnt vmcnt(0) lgkmcnt(0)
	v_mul_f64 v[12:13], v[16:17], v[10:11]
	s_delay_alu instid0(VALU_DEP_1) | instskip(SKIP_1) | instid1(VALU_DEP_1)
	v_fma_f64 v[84:85], v[14:15], v[8:9], v[12:13]
	v_mul_f64 v[8:9], v[16:17], v[8:9]
	v_fma_f64 v[80:81], v[14:15], v[10:11], -v[8:9]
	scratch_load_b128 v[14:17], off, off offset:1328 ; 16-byte Folded Reload
	ds_load_b128 v[8:11], v94 offset:47520
	s_waitcnt vmcnt(0) lgkmcnt(0)
	v_mul_f64 v[12:13], v[16:17], v[10:11]
	s_delay_alu instid0(VALU_DEP_1) | instskip(SKIP_1) | instid1(VALU_DEP_1)
	v_fma_f64 v[86:87], v[14:15], v[8:9], v[12:13]
	v_mul_f64 v[8:9], v[16:17], v[8:9]
	v_fma_f64 v[82:83], v[14:15], v[10:11], -v[8:9]
	scratch_load_b128 v[14:17], off, off offset:1724 ; 16-byte Folded Reload
	ds_load_b128 v[8:11], v94 offset:28080
	v_add_f64 v[88:89], v[80:81], -v[82:83]
	s_waitcnt vmcnt(0) lgkmcnt(0)
	v_mul_f64 v[12:13], v[16:17], v[10:11]
	s_delay_alu instid0(VALU_DEP_1) | instskip(SKIP_1) | instid1(VALU_DEP_1)
	v_fma_f64 v[92:93], v[14:15], v[8:9], v[12:13]
	v_mul_f64 v[8:9], v[16:17], v[8:9]
	v_fma_f64 v[95:96], v[14:15], v[10:11], -v[8:9]
	scratch_load_b128 v[14:17], off, off offset:1740 ; 16-byte Folded Reload
	ds_load_b128 v[8:11], v94 offset:49680
	s_waitcnt vmcnt(0) lgkmcnt(0)
	v_mul_f64 v[12:13], v[16:17], v[10:11]
	s_delay_alu instid0(VALU_DEP_1) | instskip(SKIP_1) | instid1(VALU_DEP_1)
	v_fma_f64 v[99:100], v[14:15], v[8:9], v[12:13]
	v_mul_f64 v[8:9], v[16:17], v[8:9]
	v_fma_f64 v[97:98], v[14:15], v[10:11], -v[8:9]
	scratch_load_b128 v[14:17], off, off offset:1756 ; 16-byte Folded Reload
	ds_load_b128 v[8:11], v94 offset:30240
	v_add_f64 v[101:102], v[95:96], -v[97:98]
	s_waitcnt vmcnt(0) lgkmcnt(0)
	v_mul_f64 v[12:13], v[16:17], v[10:11]
	s_delay_alu instid0(VALU_DEP_1) | instskip(SKIP_1) | instid1(VALU_DEP_1)
	v_fma_f64 v[32:33], v[14:15], v[8:9], v[12:13]
	v_mul_f64 v[8:9], v[16:17], v[8:9]
	v_fma_f64 v[34:35], v[14:15], v[10:11], -v[8:9]
	ds_load_b128 v[8:11], v94 offset:51840
	s_waitcnt lgkmcnt(0)
	v_mul_f64 v[12:13], v[246:247], v[10:11]
	s_delay_alu instid0(VALU_DEP_1) | instskip(SKIP_1) | instid1(VALU_DEP_1)
	v_fma_f64 v[36:37], v[244:245], v[8:9], v[12:13]
	v_mul_f64 v[8:9], v[246:247], v[8:9]
	v_fma_f64 v[38:39], v[244:245], v[10:11], -v[8:9]
	ds_load_b128 v[8:11], v94 offset:32400
	s_waitcnt lgkmcnt(0)
	;; [unrolled: 7-line block ×9, first 2 shown]
	v_mul_f64 v[18:19], v[218:219], v[10:11]
	s_delay_alu instid0(VALU_DEP_1) | instskip(SKIP_1) | instid1(VALU_DEP_1)
	v_fma_f64 v[18:19], v[216:217], v[8:9], v[18:19]
	v_mul_f64 v[8:9], v[218:219], v[8:9]
	v_fma_f64 v[22:23], v[216:217], v[10:11], -v[8:9]
	v_mul_f64 v[8:9], v[222:223], v[26:27]
	v_mul_f64 v[10:11], v[222:223], v[24:25]
	s_delay_alu instid0(VALU_DEP_2) | instskip(NEXT) | instid1(VALU_DEP_2)
	v_fma_f64 v[8:9], v[220:221], v[24:25], v[8:9]
	v_fma_f64 v[10:11], v[220:221], v[26:27], -v[10:11]
	v_mul_f64 v[24:25], v[214:215], v[58:59]
	v_mul_f64 v[26:27], v[214:215], v[56:57]
	s_delay_alu instid0(VALU_DEP_2) | instskip(NEXT) | instid1(VALU_DEP_2)
	v_fma_f64 v[24:25], v[212:213], v[56:57], v[24:25]
	v_fma_f64 v[26:27], v[212:213], v[58:59], -v[26:27]
	ds_load_b128 v[56:59], v94
	s_waitcnt lgkmcnt(0)
	v_fma_f64 v[62:63], v[60:61], -0.5, v[56:57]
	v_add_f64 v[60:61], v[2:3], v[6:7]
	v_add_f64 v[56:57], v[56:57], v[0:1]
	v_add_f64 v[0:1], v[0:1], -v[4:5]
	s_delay_alu instid0(VALU_DEP_3) | instskip(SKIP_4) | instid1(VALU_DEP_4)
	v_fma_f64 v[66:67], v[60:61], -0.5, v[58:59]
	v_add_f64 v[58:59], v[58:59], v[2:3]
	v_add_f64 v[2:3], v[2:3], -v[6:7]
	v_add_f64 v[56:57], v[56:57], v[4:5]
	v_add_f64 v[4:5], v[72:73], v[74:75]
	;; [unrolled: 1-line block ×3, first 2 shown]
	s_delay_alu instid0(VALU_DEP_4)
	v_fma_f64 v[60:61], v[2:3], s[2:3], v[62:63]
	v_fma_f64 v[64:65], v[2:3], s[8:9], v[62:63]
	;; [unrolled: 1-line block ×4, first 2 shown]
	ds_load_b128 v[0:3], v94 offset:2160
	v_add_f64 v[6:7], v[68:69], v[70:71]
	s_waitcnt lgkmcnt(0)
	v_fma_f64 v[4:5], v[4:5], -0.5, v[0:1]
	v_add_f64 v[0:1], v[0:1], v[72:73]
	s_delay_alu instid0(VALU_DEP_3) | instskip(SKIP_1) | instid1(VALU_DEP_3)
	v_fma_f64 v[6:7], v[6:7], -0.5, v[2:3]
	v_add_f64 v[2:3], v[2:3], v[68:69]
	v_add_f64 v[68:69], v[0:1], v[74:75]
	v_add_f64 v[0:1], v[72:73], -v[74:75]
	v_fma_f64 v[72:73], v[76:77], s[2:3], v[4:5]
	v_fma_f64 v[76:77], v[76:77], s[8:9], v[4:5]
	v_add_f64 v[4:5], v[84:85], v[86:87]
	v_add_f64 v[70:71], v[2:3], v[70:71]
	v_fma_f64 v[74:75], v[0:1], s[8:9], v[6:7]
	v_fma_f64 v[78:79], v[0:1], s[2:3], v[6:7]
	ds_load_b128 v[0:3], v94 offset:4320
	v_add_f64 v[6:7], v[80:81], v[82:83]
	s_waitcnt lgkmcnt(0)
	v_fma_f64 v[4:5], v[4:5], -0.5, v[0:1]
	v_add_f64 v[0:1], v[0:1], v[84:85]
	s_delay_alu instid0(VALU_DEP_3) | instskip(SKIP_1) | instid1(VALU_DEP_3)
	v_fma_f64 v[6:7], v[6:7], -0.5, v[2:3]
	v_add_f64 v[2:3], v[2:3], v[80:81]
	v_add_f64 v[80:81], v[0:1], v[86:87]
	v_add_f64 v[0:1], v[84:85], -v[86:87]
	v_fma_f64 v[84:85], v[88:89], s[2:3], v[4:5]
	v_fma_f64 v[88:89], v[88:89], s[8:9], v[4:5]
	v_add_f64 v[4:5], v[92:93], v[99:100]
	v_add_f64 v[82:83], v[2:3], v[82:83]
	v_fma_f64 v[86:87], v[0:1], s[8:9], v[6:7]
	v_fma_f64 v[90:91], v[0:1], s[2:3], v[6:7]
	ds_load_b128 v[0:3], v94 offset:6480
	v_add_f64 v[6:7], v[95:96], v[97:98]
	s_waitcnt lgkmcnt(0)
	v_fma_f64 v[4:5], v[4:5], -0.5, v[0:1]
	v_add_f64 v[0:1], v[0:1], v[92:93]
	s_delay_alu instid0(VALU_DEP_3) | instskip(SKIP_1) | instid1(VALU_DEP_4)
	v_fma_f64 v[6:7], v[6:7], -0.5, v[2:3]
	v_add_f64 v[2:3], v[2:3], v[95:96]
	v_fma_f64 v[103:104], v[101:102], s[8:9], v[4:5]
	s_delay_alu instid0(VALU_DEP_4) | instskip(SKIP_3) | instid1(VALU_DEP_3)
	v_add_f64 v[95:96], v[0:1], v[99:100]
	v_add_f64 v[0:1], v[92:93], -v[99:100]
	v_fma_f64 v[99:100], v[101:102], s[2:3], v[4:5]
	v_add_f64 v[97:98], v[2:3], v[97:98]
	v_fma_f64 v[101:102], v[0:1], s[8:9], v[6:7]
	v_fma_f64 v[105:106], v[0:1], s[2:3], v[6:7]
	ds_load_b128 v[107:110], v94 offset:8640
	ds_load_b128 v[111:114], v94 offset:10800
	;; [unrolled: 1-line block ×6, first 2 shown]
	s_waitcnt lgkmcnt(0)
	s_barrier
	buffer_gl0_inv
	ds_store_b128 v94, v[56:59]
	ds_store_b128 v94, v[60:63] offset:7200
	ds_store_b128 v94, v[64:67] offset:14400
	;; [unrolled: 1-line block ×8, first 2 shown]
	scratch_load_b32 v56, off, off offset:1784 ; 4-byte Folded Reload
	s_waitcnt vmcnt(0)
	ds_store_b128 v56, v[95:98]
	ds_store_b128 v56, v[99:102] offset:7200
	ds_store_b128 v56, v[103:106] offset:14400
	v_add_f64 v[56:57], v[32:33], v[36:37]
	v_add_f64 v[64:65], v[107:108], v[32:33]
	;; [unrolled: 1-line block ×3, first 2 shown]
	s_delay_alu instid0(VALU_DEP_3) | instskip(SKIP_1) | instid1(VALU_DEP_1)
	v_fma_f64 v[60:61], v[56:57], -0.5, v[107:108]
	v_add_f64 v[56:57], v[34:35], v[38:39]
	v_fma_f64 v[62:63], v[56:57], -0.5, v[109:110]
	v_add_f64 v[56:57], v[109:110], v[34:35]
	v_add_f64 v[34:35], v[34:35], -v[38:39]
	s_delay_alu instid0(VALU_DEP_2) | instskip(SKIP_2) | instid1(VALU_DEP_4)
	v_add_f64 v[58:59], v[56:57], v[38:39]
	v_add_f64 v[56:57], v[64:65], v[36:37]
	v_add_f64 v[38:39], v[32:33], -v[36:37]
	v_fma_f64 v[32:33], v[34:35], s[2:3], v[60:61]
	v_fma_f64 v[36:37], v[34:35], s[8:9], v[60:61]
	v_add_f64 v[60:61], v[40:41], v[50:51]
	s_delay_alu instid0(VALU_DEP_4) | instskip(SKIP_1) | instid1(VALU_DEP_3)
	v_fma_f64 v[34:35], v[38:39], s[8:9], v[62:63]
	v_fma_f64 v[38:39], v[38:39], s[2:3], v[62:63]
	v_fma_f64 v[64:65], v[60:61], -0.5, v[111:112]
	v_add_f64 v[60:61], v[42:43], v[54:55]
	s_delay_alu instid0(VALU_DEP_1) | instskip(SKIP_2) | instid1(VALU_DEP_2)
	v_fma_f64 v[66:67], v[60:61], -0.5, v[113:114]
	v_add_f64 v[60:61], v[113:114], v[42:43]
	v_add_f64 v[42:43], v[42:43], -v[54:55]
	v_add_f64 v[62:63], v[60:61], v[54:55]
	v_add_f64 v[60:61], v[68:69], v[50:51]
	v_add_f64 v[50:51], v[40:41], -v[50:51]
	s_delay_alu instid0(VALU_DEP_4) | instskip(SKIP_2) | instid1(VALU_DEP_4)
	v_fma_f64 v[40:41], v[42:43], s[2:3], v[64:65]
	v_fma_f64 v[64:65], v[42:43], s[8:9], v[64:65]
	v_add_f64 v[68:69], v[115:116], v[44:45]
	v_fma_f64 v[42:43], v[50:51], s[8:9], v[66:67]
	v_fma_f64 v[66:67], v[50:51], s[2:3], v[66:67]
	ds_store_b128 v94, v[56:59] offset:23040
	ds_store_b128 v94, v[32:35] offset:30240
	;; [unrolled: 1-line block ×6, first 2 shown]
	scratch_load_b32 v32, off, off offset:1780 ; 4-byte Folded Reload
	v_add_f64 v[50:51], v[44:45], v[48:49]
	v_add_f64 v[34:35], v[119:120], v[14:15]
	s_delay_alu instid0(VALU_DEP_2) | instskip(SKIP_1) | instid1(VALU_DEP_1)
	v_fma_f64 v[54:55], v[50:51], -0.5, v[115:116]
	v_add_f64 v[50:51], v[46:47], v[52:53]
	v_fma_f64 v[70:71], v[50:51], -0.5, v[117:118]
	v_add_f64 v[50:51], v[117:118], v[46:47]
	v_add_f64 v[46:47], v[46:47], -v[52:53]
	s_delay_alu instid0(VALU_DEP_2) | instskip(SKIP_2) | instid1(VALU_DEP_4)
	v_add_f64 v[52:53], v[50:51], v[52:53]
	v_add_f64 v[50:51], v[68:69], v[48:49]
	v_add_f64 v[48:49], v[44:45], -v[48:49]
	v_fma_f64 v[44:45], v[46:47], s[2:3], v[54:55]
	v_fma_f64 v[68:69], v[46:47], s[8:9], v[54:55]
	s_delay_alu instid0(VALU_DEP_3)
	v_fma_f64 v[46:47], v[48:49], s[8:9], v[70:71]
	v_fma_f64 v[70:71], v[48:49], s[2:3], v[70:71]
	s_waitcnt vmcnt(0)
	ds_store_b128 v32, v[50:53]
	ds_store_b128 v32, v[44:47] offset:7200
	ds_store_b128 v32, v[68:71] offset:14400
	v_add_f64 v[32:33], v[14:15], v[28:29]
	v_add_f64 v[14:15], v[14:15], -v[28:29]
	s_delay_alu instid0(VALU_DEP_2) | instskip(SKIP_1) | instid1(VALU_DEP_1)
	v_fma_f64 v[36:37], v[32:33], -0.5, v[119:120]
	v_add_f64 v[32:33], v[20:21], v[30:31]
	v_fma_f64 v[40:41], v[32:33], -0.5, v[121:122]
	v_add_f64 v[32:33], v[121:122], v[20:21]
	v_add_f64 v[20:21], v[20:21], -v[30:31]
	s_delay_alu instid0(VALU_DEP_2) | instskip(SKIP_1) | instid1(VALU_DEP_3)
	v_add_f64 v[32:33], v[32:33], v[30:31]
	v_add_f64 v[30:31], v[34:35], v[28:29]
	v_fma_f64 v[34:35], v[20:21], s[2:3], v[36:37]
	v_fma_f64 v[38:39], v[20:21], s[8:9], v[36:37]
	;; [unrolled: 1-line block ×4, first 2 shown]
	scratch_load_b32 v14, off, off offset:1776 ; 4-byte Folded Reload
	s_waitcnt vmcnt(0)
	ds_store_b128 v14, v[30:33] offset:43200
	ds_store_b128 v14, v[34:37] offset:50400
	;; [unrolled: 1-line block ×3, first 2 shown]
	v_add_f64 v[14:15], v[12:13], v[18:19]
	v_add_f64 v[20:21], v[16:17], v[22:23]
	s_delay_alu instid0(VALU_DEP_2) | instskip(SKIP_1) | instid1(VALU_DEP_3)
	v_fma_f64 v[14:15], v[14:15], -0.5, v[4:5]
	v_add_f64 v[4:5], v[4:5], v[12:13]
	v_fma_f64 v[20:21], v[20:21], -0.5, v[6:7]
	v_add_f64 v[6:7], v[6:7], v[16:17]
	v_add_f64 v[16:17], v[16:17], -v[22:23]
	s_delay_alu instid0(VALU_DEP_4) | instskip(SKIP_1) | instid1(VALU_DEP_4)
	v_add_f64 v[4:5], v[4:5], v[18:19]
	v_add_f64 v[18:19], v[12:13], -v[18:19]
	v_add_f64 v[6:7], v[6:7], v[22:23]
	s_delay_alu instid0(VALU_DEP_4) | instskip(SKIP_1) | instid1(VALU_DEP_4)
	v_fma_f64 v[12:13], v[16:17], s[2:3], v[14:15]
	v_fma_f64 v[16:17], v[16:17], s[8:9], v[14:15]
	;; [unrolled: 1-line block ×4, first 2 shown]
	scratch_load_b32 v20, off, off offset:1772 ; 4-byte Folded Reload
	s_waitcnt vmcnt(0)
	ds_store_b128 v20, v[4:7] offset:43200
	ds_store_b128 v20, v[12:15] offset:50400
	;; [unrolled: 1-line block ×3, first 2 shown]
	v_add_f64 v[4:5], v[8:9], v[24:25]
	v_add_f64 v[14:15], v[8:9], -v[24:25]
	s_delay_alu instid0(VALU_DEP_2) | instskip(SKIP_2) | instid1(VALU_DEP_2)
	v_fma_f64 v[6:7], v[4:5], -0.5, v[0:1]
	v_add_f64 v[4:5], v[10:11], v[26:27]
	v_add_f64 v[0:1], v[0:1], v[8:9]
	v_fma_f64 v[12:13], v[4:5], -0.5, v[2:3]
	v_add_f64 v[2:3], v[2:3], v[10:11]
	v_add_f64 v[10:11], v[10:11], -v[26:27]
	s_delay_alu instid0(VALU_DEP_4) | instskip(NEXT) | instid1(VALU_DEP_3)
	v_add_f64 v[0:1], v[0:1], v[24:25]
	v_add_f64 v[2:3], v[2:3], v[26:27]
	s_delay_alu instid0(VALU_DEP_3)
	v_fma_f64 v[4:5], v[10:11], s[2:3], v[6:7]
	v_fma_f64 v[8:9], v[10:11], s[8:9], v[6:7]
	v_fma_f64 v[6:7], v[14:15], s[8:9], v[12:13]
	v_fma_f64 v[10:11], v[14:15], s[2:3], v[12:13]
	ds_store_b128 v159, v[0:3] offset:43200
	ds_store_b128 v159, v[4:7] offset:50400
	;; [unrolled: 1-line block ×3, first 2 shown]
	s_waitcnt lgkmcnt(0)
	s_barrier
	buffer_gl0_inv
	ds_load_b128 v[2:5], v94 offset:21600
	ds_load_b128 v[121:124], v94 offset:19440
	;; [unrolled: 1-line block ×4, first 2 shown]
	s_waitcnt lgkmcnt(3)
	v_mul_f64 v[0:1], v[153:154], v[4:5]
	s_delay_alu instid0(VALU_DEP_1) | instskip(SKIP_1) | instid1(VALU_DEP_1)
	v_fma_f64 v[0:1], v[151:152], v[2:3], v[0:1]
	v_mul_f64 v[2:3], v[153:154], v[2:3]
	v_fma_f64 v[2:3], v[151:152], v[4:5], -v[2:3]
	s_waitcnt lgkmcnt(1)
	v_mul_f64 v[4:5], v[145:146], v[8:9]
	s_delay_alu instid0(VALU_DEP_1) | instskip(SKIP_1) | instid1(VALU_DEP_2)
	v_fma_f64 v[4:5], v[143:144], v[6:7], v[4:5]
	v_mul_f64 v[6:7], v[145:146], v[6:7]
	v_add_f64 v[22:23], v[0:1], -v[4:5]
	s_delay_alu instid0(VALU_DEP_2) | instskip(SKIP_4) | instid1(VALU_DEP_2)
	v_fma_f64 v[6:7], v[143:144], v[8:9], -v[6:7]
	ds_load_b128 v[8:11], v94 offset:23760
	s_waitcnt lgkmcnt(0)
	v_mul_f64 v[12:13], v[210:211], v[10:11]
	v_add_f64 v[14:15], v[2:3], v[6:7]
	v_fma_f64 v[16:17], v[208:209], v[8:9], v[12:13]
	v_mul_f64 v[8:9], v[210:211], v[8:9]
	s_delay_alu instid0(VALU_DEP_1) | instskip(SKIP_3) | instid1(VALU_DEP_1)
	v_fma_f64 v[18:19], v[208:209], v[10:11], -v[8:9]
	ds_load_b128 v[8:11], v94 offset:45360
	s_waitcnt lgkmcnt(0)
	v_mul_f64 v[12:13], v[206:207], v[10:11]
	v_fma_f64 v[24:25], v[204:205], v[8:9], v[12:13]
	v_mul_f64 v[8:9], v[206:207], v[8:9]
	s_delay_alu instid0(VALU_DEP_1) | instskip(SKIP_3) | instid1(VALU_DEP_1)
	v_fma_f64 v[20:21], v[204:205], v[10:11], -v[8:9]
	ds_load_b128 v[8:11], v94 offset:25920
	s_waitcnt lgkmcnt(0)
	v_mul_f64 v[12:13], v[202:203], v[10:11]
	;; [unrolled: 7-line block ×9, first 2 shown]
	v_fma_f64 v[92:93], v[180:181], v[8:9], v[12:13]
	v_mul_f64 v[8:9], v[182:183], v[8:9]
	s_delay_alu instid0(VALU_DEP_1)
	v_fma_f64 v[95:96], v[180:181], v[10:11], -v[8:9]
	ds_load_b128 v[8:11], v94 offset:34560
	s_waitcnt lgkmcnt(0)
	v_mul_f64 v[12:13], v[170:171], v[10:11]
	v_add_f64 v[107:108], v[90:91], v[95:96]
	v_add_f64 v[109:110], v[90:91], -v[95:96]
	s_delay_alu instid0(VALU_DEP_3) | instskip(SKIP_1) | instid1(VALU_DEP_1)
	v_fma_f64 v[80:81], v[168:169], v[8:9], v[12:13]
	v_mul_f64 v[8:9], v[170:171], v[8:9]
	v_fma_f64 v[82:83], v[168:169], v[10:11], -v[8:9]
	ds_load_b128 v[8:11], v94 offset:56160
	s_waitcnt lgkmcnt(0)
	v_mul_f64 v[12:13], v[157:158], v[10:11]
	s_delay_alu instid0(VALU_DEP_1) | instskip(SKIP_1) | instid1(VALU_DEP_1)
	v_fma_f64 v[84:85], v[155:156], v[8:9], v[12:13]
	v_mul_f64 v[8:9], v[157:158], v[8:9]
	v_fma_f64 v[88:89], v[155:156], v[10:11], -v[8:9]
	ds_load_b128 v[8:11], v94 offset:36720
	s_waitcnt lgkmcnt(0)
	v_mul_f64 v[12:13], v[162:163], v[10:11]
	s_delay_alu instid0(VALU_DEP_1) | instskip(SKIP_1) | instid1(VALU_DEP_1)
	;; [unrolled: 7-line block ×6, first 2 shown]
	v_fma_f64 v[56:57], v[139:140], v[8:9], v[12:13]
	v_mul_f64 v[8:9], v[141:142], v[8:9]
	v_fma_f64 v[58:59], v[139:140], v[10:11], -v[8:9]
	ds_load_b128 v[8:11], v94 offset:62640
	s_waitcnt lgkmcnt(0)
	v_mul_f64 v[12:13], v[137:138], v[10:11]
	s_delay_alu instid0(VALU_DEP_1) | instskip(SKIP_2) | instid1(VALU_DEP_2)
	v_fma_f64 v[60:61], v[135:136], v[8:9], v[12:13]
	v_mul_f64 v[8:9], v[137:138], v[8:9]
	v_add_f64 v[12:13], v[0:1], v[4:5]
	v_fma_f64 v[62:63], v[135:136], v[10:11], -v[8:9]
	ds_load_b128 v[8:11], v94
	s_waitcnt lgkmcnt(0)
	v_fma_f64 v[12:13], v[12:13], -0.5, v[8:9]
	v_fma_f64 v[14:15], v[14:15], -0.5, v[10:11]
	v_add_f64 v[10:11], v[10:11], v[2:3]
	v_add_f64 v[8:9], v[8:9], v[0:1]
	v_add_f64 v[2:3], v[2:3], -v[6:7]
	s_delay_alu instid0(VALU_DEP_3) | instskip(NEXT) | instid1(VALU_DEP_3)
	v_add_f64 v[10:11], v[10:11], v[6:7]
	v_add_f64 v[8:9], v[8:9], v[4:5]
	s_delay_alu instid0(VALU_DEP_3)
	v_fma_f64 v[4:5], v[2:3], s[2:3], v[12:13]
	v_fma_f64 v[0:1], v[2:3], s[8:9], v[12:13]
	;; [unrolled: 1-line block ×4, first 2 shown]
	v_add_f64 v[22:23], v[16:17], v[24:25]
	ds_load_b128 v[12:15], v94 offset:2160
	s_waitcnt lgkmcnt(0)
	v_fma_f64 v[26:27], v[22:23], -0.5, v[12:13]
	v_add_f64 v[22:23], v[18:19], v[20:21]
	v_add_f64 v[12:13], v[12:13], v[16:17]
	s_delay_alu instid0(VALU_DEP_2) | instskip(SKIP_2) | instid1(VALU_DEP_2)
	v_fma_f64 v[34:35], v[22:23], -0.5, v[14:15]
	v_add_f64 v[14:15], v[14:15], v[18:19]
	v_add_f64 v[18:19], v[18:19], -v[20:21]
	v_add_f64 v[22:23], v[14:15], v[20:21]
	v_add_f64 v[14:15], v[16:17], -v[24:25]
	v_add_f64 v[20:21], v[12:13], v[24:25]
	s_delay_alu instid0(VALU_DEP_4)
	v_fma_f64 v[16:17], v[18:19], s[2:3], v[26:27]
	v_fma_f64 v[12:13], v[18:19], s[8:9], v[26:27]
	ds_load_b128 v[24:27], v94 offset:4320
	v_fma_f64 v[18:19], v[14:15], s[8:9], v[34:35]
	v_fma_f64 v[14:15], v[14:15], s[2:3], v[34:35]
	v_add_f64 v[34:35], v[28:29], v[36:37]
	s_waitcnt lgkmcnt(0)
	s_delay_alu instid0(VALU_DEP_1) | instskip(SKIP_2) | instid1(VALU_DEP_2)
	v_fma_f64 v[38:39], v[34:35], -0.5, v[24:25]
	v_add_f64 v[34:35], v[30:31], v[32:33]
	v_add_f64 v[24:25], v[24:25], v[28:29]
	v_fma_f64 v[46:47], v[34:35], -0.5, v[26:27]
	v_add_f64 v[26:27], v[26:27], v[30:31]
	v_add_f64 v[30:31], v[30:31], -v[32:33]
	s_delay_alu instid0(VALU_DEP_2) | instskip(SKIP_2) | instid1(VALU_DEP_4)
	v_add_f64 v[34:35], v[26:27], v[32:33]
	v_add_f64 v[26:27], v[28:29], -v[36:37]
	v_add_f64 v[32:33], v[24:25], v[36:37]
	v_fma_f64 v[28:29], v[30:31], s[2:3], v[38:39]
	v_fma_f64 v[24:25], v[30:31], s[8:9], v[38:39]
	ds_load_b128 v[36:39], v94 offset:6480
	v_fma_f64 v[30:31], v[26:27], s[8:9], v[46:47]
	v_fma_f64 v[26:27], v[26:27], s[2:3], v[46:47]
	v_add_f64 v[46:47], v[40:41], v[48:49]
	s_waitcnt lgkmcnt(0)
	s_delay_alu instid0(VALU_DEP_1) | instskip(SKIP_2) | instid1(VALU_DEP_2)
	v_fma_f64 v[50:51], v[46:47], -0.5, v[36:37]
	v_add_f64 v[46:47], v[42:43], v[44:45]
	v_add_f64 v[36:37], v[36:37], v[40:41]
	v_fma_f64 v[99:100], v[46:47], -0.5, v[38:39]
	v_add_f64 v[38:39], v[38:39], v[42:43]
	v_add_f64 v[42:43], v[42:43], -v[44:45]
	s_delay_alu instid0(VALU_DEP_2) | instskip(SKIP_2) | instid1(VALU_DEP_4)
	v_add_f64 v[46:47], v[38:39], v[44:45]
	v_add_f64 v[38:39], v[40:41], -v[48:49]
	v_add_f64 v[44:45], v[36:37], v[48:49]
	;; [unrolled: 18-line block ×3, first 2 shown]
	v_fma_f64 v[52:53], v[54:55], s[2:3], v[103:104]
	v_fma_f64 v[48:49], v[54:55], s[8:9], v[103:104]
	ds_load_b128 v[101:104], v94 offset:10800
	s_waitcnt lgkmcnt(0)
	v_fma_f64 v[107:108], v[107:108], -0.5, v[103:104]
	v_add_f64 v[103:104], v[103:104], v[90:91]
	v_fma_f64 v[54:55], v[50:51], s[8:9], v[105:106]
	v_fma_f64 v[50:51], v[50:51], s[2:3], v[105:106]
	v_add_f64 v[105:106], v[86:87], v[92:93]
	s_delay_alu instid0(VALU_DEP_4) | instskip(NEXT) | instid1(VALU_DEP_2)
	v_add_f64 v[103:104], v[103:104], v[95:96]
	v_fma_f64 v[105:106], v[105:106], -0.5, v[101:102]
	v_add_f64 v[101:102], v[101:102], v[86:87]
	v_add_f64 v[86:87], v[86:87], -v[92:93]
	s_delay_alu instid0(VALU_DEP_3) | instskip(NEXT) | instid1(VALU_DEP_3)
	v_fma_f64 v[90:91], v[109:110], s[2:3], v[105:106]
	v_add_f64 v[101:102], v[101:102], v[92:93]
	s_delay_alu instid0(VALU_DEP_3)
	v_fma_f64 v[92:93], v[86:87], s[8:9], v[107:108]
	v_fma_f64 v[107:108], v[86:87], s[2:3], v[107:108]
	v_add_f64 v[86:87], v[80:81], v[84:85]
	v_fma_f64 v[105:106], v[109:110], s[8:9], v[105:106]
	ds_load_b128 v[109:112], v94 offset:12960
	s_waitcnt lgkmcnt(0)
	v_fma_f64 v[95:96], v[86:87], -0.5, v[109:110]
	v_add_f64 v[86:87], v[82:83], v[88:89]
	v_add_f64 v[109:110], v[109:110], v[80:81]
	s_delay_alu instid0(VALU_DEP_2) | instskip(SKIP_2) | instid1(VALU_DEP_2)
	v_fma_f64 v[113:114], v[86:87], -0.5, v[111:112]
	v_add_f64 v[86:87], v[111:112], v[82:83]
	v_add_f64 v[82:83], v[82:83], -v[88:89]
	v_add_f64 v[88:89], v[86:87], v[88:89]
	v_add_f64 v[86:87], v[109:110], v[84:85]
	v_add_f64 v[84:85], v[80:81], -v[84:85]
	s_delay_alu instid0(VALU_DEP_4) | instskip(SKIP_2) | instid1(VALU_DEP_4)
	v_fma_f64 v[80:81], v[82:83], s[2:3], v[95:96]
	v_fma_f64 v[109:110], v[82:83], s[8:9], v[95:96]
	v_add_f64 v[95:96], v[66:67], v[78:79]
	v_fma_f64 v[82:83], v[84:85], s[8:9], v[113:114]
	v_fma_f64 v[111:112], v[84:85], s[2:3], v[113:114]
	ds_load_b128 v[113:116], v94 offset:15120
	v_add_f64 v[84:85], v[64:65], v[76:77]
	s_waitcnt lgkmcnt(0)
	v_fma_f64 v[95:96], v[95:96], -0.5, v[115:116]
	v_add_f64 v[115:116], v[115:116], v[66:67]
	v_add_f64 v[66:67], v[66:67], -v[78:79]
	s_delay_alu instid0(VALU_DEP_4) | instskip(SKIP_1) | instid1(VALU_DEP_4)
	v_fma_f64 v[84:85], v[84:85], -0.5, v[113:114]
	v_add_f64 v[113:114], v[113:114], v[64:65]
	v_add_f64 v[115:116], v[115:116], v[78:79]
	v_add_f64 v[78:79], v[64:65], -v[76:77]
	s_delay_alu instid0(VALU_DEP_4) | instskip(NEXT) | instid1(VALU_DEP_4)
	v_fma_f64 v[64:65], v[66:67], s[2:3], v[84:85]
	v_add_f64 v[113:114], v[113:114], v[76:77]
	v_fma_f64 v[76:77], v[66:67], s[8:9], v[84:85]
	v_add_f64 v[84:85], v[68:69], v[72:73]
	v_fma_f64 v[66:67], v[78:79], s[8:9], v[95:96]
	v_fma_f64 v[78:79], v[78:79], s[2:3], v[95:96]
	v_add_f64 v[95:96], v[70:71], v[74:75]
	s_delay_alu instid0(VALU_DEP_4) | instskip(SKIP_1) | instid1(VALU_DEP_3)
	v_fma_f64 v[84:85], v[84:85], -0.5, v[117:118]
	v_add_f64 v[117:118], v[117:118], v[68:69]
	v_fma_f64 v[95:96], v[95:96], -0.5, v[119:120]
	v_add_f64 v[119:120], v[119:120], v[70:71]
	v_add_f64 v[70:71], v[70:71], -v[74:75]
	s_delay_alu instid0(VALU_DEP_4) | instskip(NEXT) | instid1(VALU_DEP_3)
	v_add_f64 v[117:118], v[117:118], v[72:73]
	v_add_f64 v[119:120], v[119:120], v[74:75]
	v_add_f64 v[74:75], v[68:69], -v[72:73]
	s_delay_alu instid0(VALU_DEP_4) | instskip(SKIP_2) | instid1(VALU_DEP_4)
	v_fma_f64 v[68:69], v[70:71], s[2:3], v[84:85]
	v_fma_f64 v[72:73], v[70:71], s[8:9], v[84:85]
	v_add_f64 v[84:85], v[56:57], v[60:61]
	v_fma_f64 v[70:71], v[74:75], s[8:9], v[95:96]
	v_fma_f64 v[74:75], v[74:75], s[2:3], v[95:96]
	v_add_f64 v[95:96], v[58:59], v[62:63]
	s_delay_alu instid0(VALU_DEP_4) | instskip(SKIP_1) | instid1(VALU_DEP_3)
	v_fma_f64 v[84:85], v[84:85], -0.5, v[121:122]
	v_add_f64 v[121:122], v[121:122], v[56:57]
	v_fma_f64 v[95:96], v[95:96], -0.5, v[123:124]
	v_add_f64 v[123:124], v[123:124], v[58:59]
	v_add_f64 v[58:59], v[58:59], -v[62:63]
	s_delay_alu instid0(VALU_DEP_4) | instskip(NEXT) | instid1(VALU_DEP_3)
	v_add_f64 v[121:122], v[121:122], v[60:61]
	v_add_f64 v[123:124], v[123:124], v[62:63]
	v_add_f64 v[62:63], v[56:57], -v[60:61]
	s_delay_alu instid0(VALU_DEP_4) | instskip(SKIP_1) | instid1(VALU_DEP_3)
	v_fma_f64 v[56:57], v[58:59], s[2:3], v[84:85]
	v_fma_f64 v[60:61], v[58:59], s[8:9], v[84:85]
	;; [unrolled: 1-line block ×4, first 2 shown]
	ds_store_b128 v94, v[8:11]
	ds_store_b128 v94, v[4:7] offset:21600
	ds_store_b128 v94, v[0:3] offset:43200
	;; [unrolled: 1-line block ×29, first 2 shown]
	s_waitcnt lgkmcnt(0)
	s_barrier
	buffer_gl0_inv
	s_clause 0x1
	scratch_load_b128 v[6:9], off, off offset:24
	scratch_load_b128 v[50:53], off, off offset:120
	ds_load_b128 v[0:3], v94
	s_clause 0xb
	scratch_load_b128 v[40:43], off, off offset:424
	scratch_load_b128 v[44:47], off, off offset:456
	;; [unrolled: 1-line block ×11, first 2 shown]
	scratch_load_b32 v126, off, off offset:488
	s_mul_i32 s2, s5, 0x1950
	s_mul_hi_u32 s3, s4, 0x1950
	s_delay_alu instid0(SALU_CYCLE_1) | instskip(SKIP_3) | instid1(VALU_DEP_1)
	s_add_i32 s2, s3, s2
	s_mul_i32 s3, s4, 0x1950
	s_waitcnt vmcnt(13) lgkmcnt(0)
	v_mul_f64 v[4:5], v[8:9], v[2:3]
	v_fma_f64 v[32:33], v[6:7], v[0:1], v[4:5]
	v_mul_f64 v[0:1], v[8:9], v[0:1]
	s_delay_alu instid0(VALU_DEP_1) | instskip(SKIP_4) | instid1(VALU_DEP_1)
	v_fma_f64 v[34:35], v[6:7], v[2:3], -v[0:1]
	scratch_load_b128 v[6:9], off, off offset:8 ; 16-byte Folded Reload
	ds_load_b128 v[0:3], v94 offset:6480
	s_waitcnt vmcnt(0) lgkmcnt(0)
	v_mul_f64 v[4:5], v[8:9], v[2:3]
	v_fma_f64 v[36:37], v[6:7], v[0:1], v[4:5]
	v_mul_f64 v[0:1], v[8:9], v[0:1]
	s_delay_alu instid0(VALU_DEP_1) | instskip(SKIP_4) | instid1(VALU_DEP_1)
	v_fma_f64 v[38:39], v[6:7], v[2:3], -v[0:1]
	scratch_load_b128 v[6:9], off, off offset:184 ; 16-byte Folded Reload
	ds_load_b128 v[0:3], v94 offset:12960
	s_waitcnt vmcnt(0) lgkmcnt(0)
	v_mul_f64 v[4:5], v[8:9], v[2:3]
	v_fma_f64 v[28:29], v[6:7], v[0:1], v[4:5]
	v_mul_f64 v[0:1], v[8:9], v[0:1]
	s_delay_alu instid0(VALU_DEP_1) | instskip(SKIP_4) | instid1(VALU_DEP_1)
	v_fma_f64 v[30:31], v[6:7], v[2:3], -v[0:1]
	scratch_load_b128 v[6:9], off, off offset:216 ; 16-byte Folded Reload
	ds_load_b128 v[0:3], v94 offset:19440
	s_waitcnt vmcnt(0) lgkmcnt(0)
	v_mul_f64 v[4:5], v[8:9], v[2:3]
	v_fma_f64 v[24:25], v[6:7], v[0:1], v[4:5]
	v_mul_f64 v[0:1], v[8:9], v[0:1]
	s_delay_alu instid0(VALU_DEP_1) | instskip(SKIP_4) | instid1(VALU_DEP_1)
	v_fma_f64 v[26:27], v[6:7], v[2:3], -v[0:1]
	scratch_load_b128 v[6:9], off, off offset:232 ; 16-byte Folded Reload
	ds_load_b128 v[0:3], v94 offset:25920
	s_waitcnt vmcnt(0) lgkmcnt(0)
	v_mul_f64 v[4:5], v[8:9], v[2:3]
	v_fma_f64 v[20:21], v[6:7], v[0:1], v[4:5]
	v_mul_f64 v[0:1], v[8:9], v[0:1]
	s_delay_alu instid0(VALU_DEP_1) | instskip(SKIP_4) | instid1(VALU_DEP_1)
	v_fma_f64 v[22:23], v[6:7], v[2:3], -v[0:1]
	scratch_load_b128 v[6:9], off, off offset:264 ; 16-byte Folded Reload
	ds_load_b128 v[0:3], v94 offset:32400
	s_waitcnt vmcnt(0) lgkmcnt(0)
	v_mul_f64 v[4:5], v[8:9], v[2:3]
	v_fma_f64 v[16:17], v[6:7], v[0:1], v[4:5]
	v_mul_f64 v[0:1], v[8:9], v[0:1]
	s_delay_alu instid0(VALU_DEP_1) | instskip(SKIP_4) | instid1(VALU_DEP_1)
	v_fma_f64 v[18:19], v[6:7], v[2:3], -v[0:1]
	scratch_load_b128 v[6:9], off, off offset:376 ; 16-byte Folded Reload
	ds_load_b128 v[0:3], v94 offset:38880
	s_waitcnt vmcnt(0) lgkmcnt(0)
	v_mul_f64 v[4:5], v[8:9], v[2:3]
	v_fma_f64 v[12:13], v[6:7], v[0:1], v[4:5]
	v_mul_f64 v[0:1], v[8:9], v[0:1]
	s_delay_alu instid0(VALU_DEP_1) | instskip(SKIP_3) | instid1(VALU_DEP_1)
	v_fma_f64 v[14:15], v[6:7], v[2:3], -v[0:1]
	ds_load_b128 v[0:3], v94 offset:45360
	s_waitcnt lgkmcnt(0)
	v_mul_f64 v[4:5], v[42:43], v[2:3]
	v_fma_f64 v[8:9], v[40:41], v[0:1], v[4:5]
	v_mul_f64 v[0:1], v[42:43], v[0:1]
	s_delay_alu instid0(VALU_DEP_1) | instskip(SKIP_4) | instid1(VALU_DEP_1)
	v_fma_f64 v[10:11], v[40:41], v[2:3], -v[0:1]
	scratch_load_b128 v[40:43], off, off offset:440 ; 16-byte Folded Reload
	ds_load_b128 v[0:3], v94 offset:51840
	s_waitcnt vmcnt(0) lgkmcnt(0)
	v_mul_f64 v[4:5], v[42:43], v[2:3]
	v_fma_f64 v[4:5], v[40:41], v[0:1], v[4:5]
	v_mul_f64 v[0:1], v[42:43], v[0:1]
	s_delay_alu instid0(VALU_DEP_1)
	v_fma_f64 v[6:7], v[40:41], v[2:3], -v[0:1]
	ds_load_b128 v[40:43], v94 offset:58320
	s_waitcnt lgkmcnt(0)
	v_mul_f64 v[0:1], v[46:47], v[42:43]
	v_mul_f64 v[2:3], v[46:47], v[40:41]
	scratch_load_b128 v[46:49], off, off offset:40 ; 16-byte Folded Reload
	v_fma_f64 v[0:1], v[44:45], v[40:41], v[0:1]
	v_fma_f64 v[2:3], v[44:45], v[42:43], -v[2:3]
	ds_load_b128 v[40:43], v94 offset:2160
	s_waitcnt vmcnt(0) lgkmcnt(0)
	v_mul_f64 v[44:45], v[48:49], v[42:43]
	s_delay_alu instid0(VALU_DEP_1) | instskip(SKIP_1) | instid1(VALU_DEP_1)
	v_fma_f64 v[76:77], v[46:47], v[40:41], v[44:45]
	v_mul_f64 v[40:41], v[48:49], v[40:41]
	v_fma_f64 v[78:79], v[46:47], v[42:43], -v[40:41]
	scratch_load_b128 v[46:49], off, off offset:56 ; 16-byte Folded Reload
	ds_load_b128 v[40:43], v94 offset:8640
	s_waitcnt vmcnt(0) lgkmcnt(0)
	v_mul_f64 v[44:45], v[48:49], v[42:43]
	s_delay_alu instid0(VALU_DEP_1) | instskip(SKIP_1) | instid1(VALU_DEP_1)
	v_fma_f64 v[70:71], v[46:47], v[40:41], v[44:45]
	v_mul_f64 v[40:41], v[48:49], v[40:41]
	v_fma_f64 v[74:75], v[46:47], v[42:43], -v[40:41]
	scratch_load_b128 v[46:49], off, off offset:72 ; 16-byte Folded Reload
	;; [unrolled: 8-line block ×4, first 2 shown]
	ds_load_b128 v[40:43], v94 offset:28080
	s_waitcnt vmcnt(0) lgkmcnt(0)
	v_mul_f64 v[44:45], v[48:49], v[42:43]
	s_delay_alu instid0(VALU_DEP_1) | instskip(SKIP_1) | instid1(VALU_DEP_1)
	v_fma_f64 v[56:57], v[46:47], v[40:41], v[44:45]
	v_mul_f64 v[40:41], v[48:49], v[40:41]
	v_fma_f64 v[62:63], v[46:47], v[42:43], -v[40:41]
	ds_load_b128 v[40:43], v94 offset:34560
	s_waitcnt lgkmcnt(0)
	v_mul_f64 v[44:45], v[52:53], v[42:43]
	s_delay_alu instid0(VALU_DEP_1) | instskip(SKIP_1) | instid1(VALU_DEP_1)
	v_fma_f64 v[48:49], v[50:51], v[40:41], v[44:45]
	v_mul_f64 v[40:41], v[52:53], v[40:41]
	v_fma_f64 v[52:53], v[50:51], v[42:43], -v[40:41]
	ds_load_b128 v[40:43], v94 offset:41040
	s_waitcnt lgkmcnt(0)
	v_mul_f64 v[44:45], v[82:83], v[42:43]
	s_delay_alu instid0(VALU_DEP_1) | instskip(SKIP_1) | instid1(VALU_DEP_1)
	v_fma_f64 v[44:45], v[80:81], v[40:41], v[44:45]
	v_mul_f64 v[40:41], v[82:83], v[40:41]
	v_fma_f64 v[46:47], v[80:81], v[42:43], -v[40:41]
	scratch_load_b128 v[80:83], off, off offset:168 ; 16-byte Folded Reload
	ds_load_b128 v[40:43], v94 offset:47520
	s_waitcnt vmcnt(0) lgkmcnt(0)
	v_mul_f64 v[50:51], v[82:83], v[42:43]
	s_delay_alu instid0(VALU_DEP_1) | instskip(SKIP_1) | instid1(VALU_DEP_1)
	v_fma_f64 v[50:51], v[80:81], v[40:41], v[50:51]
	v_mul_f64 v[40:41], v[82:83], v[40:41]
	v_fma_f64 v[54:55], v[80:81], v[42:43], -v[40:41]
	scratch_load_b128 v[80:83], off, off offset:200 ; 16-byte Folded Reload
	ds_load_b128 v[40:43], v94 offset:54000
	s_waitcnt vmcnt(0) lgkmcnt(0)
	v_mul_f64 v[58:59], v[82:83], v[42:43]
	s_delay_alu instid0(VALU_DEP_1) | instskip(SKIP_1) | instid1(VALU_DEP_1)
	v_fma_f64 v[58:59], v[80:81], v[40:41], v[58:59]
	v_mul_f64 v[40:41], v[82:83], v[40:41]
	v_fma_f64 v[64:65], v[80:81], v[42:43], -v[40:41]
	ds_load_b128 v[80:83], v94 offset:60480
	s_waitcnt lgkmcnt(0)
	v_mul_f64 v[40:41], v[86:87], v[82:83]
	v_mul_f64 v[42:43], v[86:87], v[80:81]
	scratch_load_b128 v[86:89], off, off offset:296 ; 16-byte Folded Reload
	v_fma_f64 v[40:41], v[84:85], v[80:81], v[40:41]
	v_fma_f64 v[42:43], v[84:85], v[82:83], -v[42:43]
	ds_load_b128 v[82:85], v94 offset:4320
	s_waitcnt vmcnt(0) lgkmcnt(0)
	v_mul_f64 v[80:81], v[88:89], v[84:85]
	s_delay_alu instid0(VALU_DEP_1) | instskip(SKIP_1) | instid1(VALU_DEP_1)
	v_fma_f64 v[80:81], v[86:87], v[82:83], v[80:81]
	v_mul_f64 v[82:83], v[88:89], v[82:83]
	v_fma_f64 v[82:83], v[86:87], v[84:85], -v[82:83]
	ds_load_b128 v[86:89], v94 offset:10800
	s_waitcnt lgkmcnt(0)
	v_mul_f64 v[84:85], v[92:93], v[88:89]
	s_delay_alu instid0(VALU_DEP_1) | instskip(SKIP_1) | instid1(VALU_DEP_1)
	v_fma_f64 v[84:85], v[90:91], v[86:87], v[84:85]
	v_mul_f64 v[86:87], v[92:93], v[86:87]
	v_fma_f64 v[86:87], v[90:91], v[88:89], -v[86:87]
	ds_load_b128 v[90:93], v94 offset:17280
	s_waitcnt lgkmcnt(0)
	;; [unrolled: 7-line block ×3, first 2 shown]
	v_mul_f64 v[92:93], v[101:102], v[97:98]
	s_delay_alu instid0(VALU_DEP_1)
	v_fma_f64 v[92:93], v[99:100], v[95:96], v[92:93]
	v_mul_f64 v[95:96], v[101:102], v[95:96]
	scratch_load_b128 v[102:105], off, off offset:280 ; 16-byte Folded Reload
	v_fma_f64 v[116:117], v[99:100], v[97:98], -v[95:96]
	ds_load_b128 v[98:101], v94 offset:30240
	s_waitcnt vmcnt(0) lgkmcnt(0)
	v_mul_f64 v[95:96], v[104:105], v[100:101]
	s_delay_alu instid0(VALU_DEP_1) | instskip(SKIP_1) | instid1(VALU_DEP_1)
	v_fma_f64 v[96:97], v[102:103], v[98:99], v[95:96]
	v_mul_f64 v[98:99], v[104:105], v[98:99]
	v_fma_f64 v[98:99], v[102:103], v[100:101], -v[98:99]
	ds_load_b128 v[102:105], v94 offset:36720
	s_waitcnt lgkmcnt(0)
	v_mul_f64 v[100:101], v[108:109], v[104:105]
	s_delay_alu instid0(VALU_DEP_1) | instskip(SKIP_1) | instid1(VALU_DEP_1)
	v_fma_f64 v[100:101], v[106:107], v[102:103], v[100:101]
	v_mul_f64 v[102:103], v[108:109], v[102:103]
	v_fma_f64 v[102:103], v[106:107], v[104:105], -v[102:103]
	ds_load_b128 v[106:109], v94 offset:43200
	s_waitcnt lgkmcnt(0)
	;; [unrolled: 7-line block ×4, first 2 shown]
	v_mul_f64 v[112:113], v[124:125], v[120:121]
	v_mul_f64 v[114:115], v[124:125], v[118:119]
	s_delay_alu instid0(VALU_DEP_2) | instskip(NEXT) | instid1(VALU_DEP_2)
	v_fma_f64 v[112:113], v[122:123], v[118:119], v[112:113]
	v_fma_f64 v[114:115], v[122:123], v[120:121], -v[114:115]
	scratch_load_b128 v[122:125], off, off offset:408 ; 16-byte Folded Reload
	ds_load_b128 v[118:121], v94 offset:62640
	s_waitcnt vmcnt(0) lgkmcnt(0)
	v_mul_f64 v[94:95], v[124:125], v[120:121]
	s_delay_alu instid0(VALU_DEP_1)
	v_fma_f64 v[94:95], v[122:123], v[118:119], v[94:95]
	v_mul_f64 v[118:119], v[124:125], v[118:119]
	scratch_load_b64 v[124:125], off, off   ; 8-byte Folded Reload
	v_fma_f64 v[118:119], v[122:123], v[120:121], -v[118:119]
	s_waitcnt vmcnt(0)
	v_mad_u64_u32 v[120:121], null, s6, v124, 0
	s_delay_alu instid0(VALU_DEP_1) | instskip(NEXT) | instid1(VALU_DEP_1)
	v_mad_u64_u32 v[122:123], null, s7, v124, v[121:122]
	v_mov_b32_e32 v121, v122
	v_mad_u64_u32 v[122:123], null, s4, v126, 0
	s_delay_alu instid0(VALU_DEP_2) | instskip(NEXT) | instid1(VALU_DEP_2)
	v_lshlrev_b64 v[120:121], 4, v[120:121]
	v_mad_u64_u32 v[124:125], null, s5, v126, v[123:124]
	s_mul_i32 s5, s5, 0xffff24a0
	s_delay_alu instid0(SALU_CYCLE_1) | instskip(NEXT) | instid1(VALU_DEP_1)
	s_sub_i32 s5, s5, s4
	v_mov_b32_e32 v123, v124
	s_delay_alu instid0(VALU_DEP_3)
	v_add_co_u32 v124, vcc_lo, s0, v120
	v_add_co_ci_u32_e32 v125, vcc_lo, s1, v121, vcc_lo
	s_mov_b32 s0, 0xc0898b71
	s_mov_b32 s1, 0x3f302e85
	v_lshlrev_b64 v[120:121], 4, v[122:123]
	v_mul_f64 v[32:33], v[32:33], s[0:1]
	v_mul_f64 v[34:35], v[34:35], s[0:1]
	;; [unrolled: 1-line block ×5, first 2 shown]
	v_add_co_u32 v120, vcc_lo, v124, v120
	v_add_co_ci_u32_e32 v121, vcc_lo, v125, v121, vcc_lo
	v_mul_f64 v[26:27], v[26:27], s[0:1]
	v_mul_f64 v[20:21], v[20:21], s[0:1]
	v_mul_f64 v[22:23], v[22:23], s[0:1]
	v_mul_f64 v[16:17], v[16:17], s[0:1]
	v_mul_f64 v[18:19], v[18:19], s[0:1]
	v_mul_f64 v[12:13], v[12:13], s[0:1]
	v_mul_f64 v[14:15], v[14:15], s[0:1]
	v_mul_f64 v[8:9], v[8:9], s[0:1]
	v_mul_f64 v[10:11], v[10:11], s[0:1]
	v_mul_f64 v[4:5], v[4:5], s[0:1]
	v_mul_f64 v[6:7], v[6:7], s[0:1]
	v_mul_f64 v[0:1], v[0:1], s[0:1]
	v_mul_f64 v[2:3], v[2:3], s[0:1]
	global_store_b128 v[120:121], v[32:35], off
	v_mul_f64 v[32:33], v[36:37], s[0:1]
	v_mul_f64 v[34:35], v[38:39], s[0:1]
	v_add_co_u32 v36, vcc_lo, v120, s3
	v_add_co_ci_u32_e32 v37, vcc_lo, s2, v121, vcc_lo
	v_mul_f64 v[38:39], v[114:115], s[0:1]
	global_store_b128 v[36:37], v[32:35], off
	v_add_co_u32 v32, vcc_lo, v36, s3
	v_add_co_ci_u32_e32 v33, vcc_lo, s2, v37, vcc_lo
	v_mul_f64 v[34:35], v[110:111], s[0:1]
	v_mul_f64 v[36:37], v[112:113], s[0:1]
	global_store_b128 v[32:33], v[28:31], off
	v_add_co_u32 v28, vcc_lo, v32, s3
	v_add_co_ci_u32_e32 v29, vcc_lo, s2, v33, vcc_lo
	v_mul_f64 v[30:31], v[106:107], s[0:1]
	;; [unrolled: 5-line block ×6, first 2 shown]
	global_store_b128 v[12:13], v[8:11], off
	v_add_co_u32 v8, vcc_lo, v12, s3
	v_add_co_ci_u32_e32 v9, vcc_lo, s2, v13, vcc_lo
	v_mul_f64 v[10:11], v[64:65], s[0:1]
	global_store_b128 v[8:9], v[4:7], off
	v_add_co_u32 v4, vcc_lo, v8, s3
	v_add_co_ci_u32_e32 v5, vcc_lo, s2, v9, vcc_lo
	v_mul_f64 v[8:9], v[58:59], s[0:1]
	global_store_b128 v[4:5], v[0:3], off
	v_mul_f64 v[0:1], v[76:77], s[0:1]
	v_mul_f64 v[2:3], v[78:79], s[0:1]
	v_mad_u64_u32 v[6:7], null, 0xffff24a0, s4, v[4:5]
	s_delay_alu instid0(VALU_DEP_1) | instskip(NEXT) | instid1(VALU_DEP_2)
	v_add_nc_u32_e32 v7, s5, v7
	v_add_co_u32 v4, vcc_lo, v6, s3
	s_delay_alu instid0(VALU_DEP_2)
	v_add_co_ci_u32_e32 v5, vcc_lo, s2, v7, vcc_lo
	global_store_b128 v[6:7], v[0:3], off
	v_mul_f64 v[0:1], v[70:71], s[0:1]
	v_mul_f64 v[2:3], v[74:75], s[0:1]
	;; [unrolled: 1-line block ×3, first 2 shown]
	global_store_b128 v[4:5], v[0:3], off
	v_mul_f64 v[0:1], v[66:67], s[0:1]
	v_mul_f64 v[2:3], v[72:73], s[0:1]
	v_add_co_u32 v4, vcc_lo, v4, s3
	v_add_co_ci_u32_e32 v5, vcc_lo, s2, v5, vcc_lo
	global_store_b128 v[4:5], v[0:3], off
	v_mul_f64 v[0:1], v[60:61], s[0:1]
	v_mul_f64 v[2:3], v[68:69], s[0:1]
	v_add_co_u32 v4, vcc_lo, v4, s3
	v_add_co_ci_u32_e32 v5, vcc_lo, s2, v5, vcc_lo
	;; [unrolled: 5-line block ×3, first 2 shown]
	s_delay_alu instid0(VALU_DEP_2) | instskip(NEXT) | instid1(VALU_DEP_2)
	v_add_co_u32 v12, vcc_lo, v4, s3
	v_add_co_ci_u32_e32 v13, vcc_lo, s2, v5, vcc_lo
	global_store_b128 v[4:5], v[0:3], off
	v_mul_f64 v[0:1], v[48:49], s[0:1]
	v_mul_f64 v[2:3], v[52:53], s[0:1]
	;; [unrolled: 1-line block ×3, first 2 shown]
	global_store_b128 v[12:13], v[0:3], off
	v_mul_f64 v[0:1], v[44:45], s[0:1]
	v_mul_f64 v[2:3], v[46:47], s[0:1]
	v_add_co_u32 v12, vcc_lo, v12, s3
	v_add_co_ci_u32_e32 v13, vcc_lo, s2, v13, vcc_lo
	s_delay_alu instid0(VALU_DEP_2) | instskip(NEXT) | instid1(VALU_DEP_2)
	v_add_co_u32 v14, vcc_lo, v12, s3
	v_add_co_ci_u32_e32 v15, vcc_lo, s2, v13, vcc_lo
	global_store_b128 v[12:13], v[0:3], off
	v_add_co_u32 v12, vcc_lo, v14, s3
	v_mul_f64 v[0:1], v[40:41], s[0:1]
	v_mul_f64 v[2:3], v[42:43], s[0:1]
	v_add_co_ci_u32_e32 v13, vcc_lo, s2, v15, vcc_lo
	s_delay_alu instid0(VALU_DEP_4)
	v_add_co_u32 v44, vcc_lo, v12, s3
	global_store_b128 v[14:15], v[4:7], off
	v_add_co_ci_u32_e32 v45, vcc_lo, s2, v13, vcc_lo
	v_mul_f64 v[4:5], v[80:81], s[0:1]
	v_mul_f64 v[6:7], v[82:83], s[0:1]
	global_store_b128 v[12:13], v[8:11], off
	v_mad_u64_u32 v[46:47], null, 0xffff24a0, s4, v[44:45]
	v_mul_f64 v[8:9], v[84:85], s[0:1]
	v_mul_f64 v[10:11], v[86:87], s[0:1]
	;; [unrolled: 1-line block ×6, first 2 shown]
	v_add_nc_u32_e32 v47, s5, v47
	v_add_co_u32 v48, vcc_lo, v46, s3
	s_delay_alu instid0(VALU_DEP_2) | instskip(NEXT) | instid1(VALU_DEP_2)
	v_add_co_ci_u32_e32 v49, vcc_lo, s2, v47, vcc_lo
	v_add_co_u32 v50, vcc_lo, v48, s3
	s_delay_alu instid0(VALU_DEP_2) | instskip(NEXT) | instid1(VALU_DEP_2)
	v_add_co_ci_u32_e32 v51, vcc_lo, s2, v49, vcc_lo
	v_add_co_u32 v52, vcc_lo, v50, s3
	s_delay_alu instid0(VALU_DEP_2) | instskip(SKIP_3) | instid1(VALU_DEP_2)
	v_add_co_ci_u32_e32 v53, vcc_lo, s2, v51, vcc_lo
	global_store_b128 v[44:45], v[0:3], off
	v_add_co_u32 v0, vcc_lo, v52, s3
	v_add_co_ci_u32_e32 v1, vcc_lo, s2, v53, vcc_lo
	v_add_co_u32 v2, vcc_lo, v0, s3
	s_delay_alu instid0(VALU_DEP_2)
	v_add_co_ci_u32_e32 v3, vcc_lo, s2, v1, vcc_lo
	global_store_b128 v[46:47], v[4:7], off
	v_add_co_u32 v4, vcc_lo, v2, s3
	v_add_co_ci_u32_e32 v5, vcc_lo, s2, v3, vcc_lo
	global_store_b128 v[48:49], v[8:11], off
	v_add_co_u32 v6, vcc_lo, v4, s3
	;; [unrolled: 3-line block ×3, first 2 shown]
	v_add_co_ci_u32_e32 v9, vcc_lo, s2, v7, vcc_lo
	global_store_b128 v[52:53], v[16:19], off
	global_store_b128 v[0:1], v[20:23], off
	v_add_co_u32 v0, vcc_lo, v8, s3
	v_add_co_ci_u32_e32 v1, vcc_lo, s2, v9, vcc_lo
	global_store_b128 v[2:3], v[24:27], off
	global_store_b128 v[4:5], v[28:31], off
	;; [unrolled: 1-line block ×5, first 2 shown]
.LBB0_2:
	s_nop 0
	s_sendmsg sendmsg(MSG_DEALLOC_VGPRS)
	s_endpgm
	.section	.rodata,"a",@progbits
	.p2align	6, 0x0
	.amdhsa_kernel bluestein_single_fwd_len4050_dim1_dp_op_CI_CI
		.amdhsa_group_segment_fixed_size 64800
		.amdhsa_private_segment_fixed_size 1792
		.amdhsa_kernarg_size 104
		.amdhsa_user_sgpr_count 15
		.amdhsa_user_sgpr_dispatch_ptr 0
		.amdhsa_user_sgpr_queue_ptr 0
		.amdhsa_user_sgpr_kernarg_segment_ptr 1
		.amdhsa_user_sgpr_dispatch_id 0
		.amdhsa_user_sgpr_private_segment_size 0
		.amdhsa_wavefront_size32 1
		.amdhsa_uses_dynamic_stack 0
		.amdhsa_enable_private_segment 1
		.amdhsa_system_sgpr_workgroup_id_x 1
		.amdhsa_system_sgpr_workgroup_id_y 0
		.amdhsa_system_sgpr_workgroup_id_z 0
		.amdhsa_system_sgpr_workgroup_info 0
		.amdhsa_system_vgpr_workitem_id 0
		.amdhsa_next_free_vgpr 256
		.amdhsa_next_free_sgpr 31
		.amdhsa_reserve_vcc 1
		.amdhsa_float_round_mode_32 0
		.amdhsa_float_round_mode_16_64 0
		.amdhsa_float_denorm_mode_32 3
		.amdhsa_float_denorm_mode_16_64 3
		.amdhsa_dx10_clamp 1
		.amdhsa_ieee_mode 1
		.amdhsa_fp16_overflow 0
		.amdhsa_workgroup_processor_mode 1
		.amdhsa_memory_ordered 1
		.amdhsa_forward_progress 0
		.amdhsa_shared_vgpr_count 0
		.amdhsa_exception_fp_ieee_invalid_op 0
		.amdhsa_exception_fp_denorm_src 0
		.amdhsa_exception_fp_ieee_div_zero 0
		.amdhsa_exception_fp_ieee_overflow 0
		.amdhsa_exception_fp_ieee_underflow 0
		.amdhsa_exception_fp_ieee_inexact 0
		.amdhsa_exception_int_div_zero 0
	.end_amdhsa_kernel
	.text
.Lfunc_end0:
	.size	bluestein_single_fwd_len4050_dim1_dp_op_CI_CI, .Lfunc_end0-bluestein_single_fwd_len4050_dim1_dp_op_CI_CI
                                        ; -- End function
	.section	.AMDGPU.csdata,"",@progbits
; Kernel info:
; codeLenInByte = 53064
; NumSgprs: 33
; NumVgprs: 256
; ScratchSize: 1792
; MemoryBound: 0
; FloatMode: 240
; IeeeMode: 1
; LDSByteSize: 64800 bytes/workgroup (compile time only)
; SGPRBlocks: 4
; VGPRBlocks: 31
; NumSGPRsForWavesPerEU: 33
; NumVGPRsForWavesPerEU: 256
; Occupancy: 3
; WaveLimiterHint : 1
; COMPUTE_PGM_RSRC2:SCRATCH_EN: 1
; COMPUTE_PGM_RSRC2:USER_SGPR: 15
; COMPUTE_PGM_RSRC2:TRAP_HANDLER: 0
; COMPUTE_PGM_RSRC2:TGID_X_EN: 1
; COMPUTE_PGM_RSRC2:TGID_Y_EN: 0
; COMPUTE_PGM_RSRC2:TGID_Z_EN: 0
; COMPUTE_PGM_RSRC2:TIDIG_COMP_CNT: 0
	.text
	.p2alignl 7, 3214868480
	.fill 96, 4, 3214868480
	.type	__hip_cuid_f1e6be282794c706,@object ; @__hip_cuid_f1e6be282794c706
	.section	.bss,"aw",@nobits
	.globl	__hip_cuid_f1e6be282794c706
__hip_cuid_f1e6be282794c706:
	.byte	0                               ; 0x0
	.size	__hip_cuid_f1e6be282794c706, 1

	.ident	"AMD clang version 19.0.0git (https://github.com/RadeonOpenCompute/llvm-project roc-6.4.0 25133 c7fe45cf4b819c5991fe208aaa96edf142730f1d)"
	.section	".note.GNU-stack","",@progbits
	.addrsig
	.addrsig_sym __hip_cuid_f1e6be282794c706
	.amdgpu_metadata
---
amdhsa.kernels:
  - .args:
      - .actual_access:  read_only
        .address_space:  global
        .offset:         0
        .size:           8
        .value_kind:     global_buffer
      - .actual_access:  read_only
        .address_space:  global
        .offset:         8
        .size:           8
        .value_kind:     global_buffer
      - .actual_access:  read_only
        .address_space:  global
        .offset:         16
        .size:           8
        .value_kind:     global_buffer
      - .actual_access:  read_only
        .address_space:  global
        .offset:         24
        .size:           8
        .value_kind:     global_buffer
      - .actual_access:  read_only
        .address_space:  global
        .offset:         32
        .size:           8
        .value_kind:     global_buffer
      - .offset:         40
        .size:           8
        .value_kind:     by_value
      - .address_space:  global
        .offset:         48
        .size:           8
        .value_kind:     global_buffer
      - .address_space:  global
        .offset:         56
        .size:           8
        .value_kind:     global_buffer
      - .address_space:  global
        .offset:         64
        .size:           8
        .value_kind:     global_buffer
      - .address_space:  global
        .offset:         72
        .size:           8
        .value_kind:     global_buffer
      - .offset:         80
        .size:           4
        .value_kind:     by_value
      - .address_space:  global
        .offset:         88
        .size:           8
        .value_kind:     global_buffer
      - .address_space:  global
        .offset:         96
        .size:           8
        .value_kind:     global_buffer
    .group_segment_fixed_size: 64800
    .kernarg_segment_align: 8
    .kernarg_segment_size: 104
    .language:       OpenCL C
    .language_version:
      - 2
      - 0
    .max_flat_workgroup_size: 135
    .name:           bluestein_single_fwd_len4050_dim1_dp_op_CI_CI
    .private_segment_fixed_size: 1792
    .sgpr_count:     33
    .sgpr_spill_count: 0
    .symbol:         bluestein_single_fwd_len4050_dim1_dp_op_CI_CI.kd
    .uniform_work_group_size: 1
    .uses_dynamic_stack: false
    .vgpr_count:     256
    .vgpr_spill_count: 447
    .wavefront_size: 32
    .workgroup_processor_mode: 1
amdhsa.target:   amdgcn-amd-amdhsa--gfx1100
amdhsa.version:
  - 1
  - 2
...

	.end_amdgpu_metadata
